;; amdgpu-corpus repo=ROCm/rocFFT kind=compiled arch=gfx1030 opt=O3
	.text
	.amdgcn_target "amdgcn-amd-amdhsa--gfx1030"
	.amdhsa_code_object_version 6
	.protected	bluestein_single_back_len2040_dim1_sp_op_CI_CI ; -- Begin function bluestein_single_back_len2040_dim1_sp_op_CI_CI
	.globl	bluestein_single_back_len2040_dim1_sp_op_CI_CI
	.p2align	8
	.type	bluestein_single_back_len2040_dim1_sp_op_CI_CI,@function
bluestein_single_back_len2040_dim1_sp_op_CI_CI: ; @bluestein_single_back_len2040_dim1_sp_op_CI_CI
; %bb.0:
	s_load_dwordx4 s[0:3], s[4:5], 0x28
	v_mul_u32_u24_e32 v1, 0x182, v0
	v_mov_b32_e32 v109, 0
	v_lshrrev_b32_e32 v1, 16, v1
	v_add_nc_u32_e32 v108, s6, v1
	s_waitcnt lgkmcnt(0)
	v_cmp_gt_u64_e32 vcc_lo, s[0:1], v[108:109]
	s_and_saveexec_b32 s0, vcc_lo
	s_cbranch_execz .LBB0_23
; %bb.1:
	v_mul_lo_u16 v1, 0xaa, v1
	s_clause 0x1
	s_load_dwordx2 s[8:9], s[4:5], 0x0
	s_load_dwordx2 s[10:11], s[4:5], 0x38
	v_sub_nc_u16 v0, v0, v1
	v_and_b32_e32 v123, 0xffff, v0
	v_cmp_gt_u16_e32 vcc_lo, 0x78, v0
	v_lshlrev_b32_e32 v122, 3, v123
	v_or_b32_e32 v121, 0x780, v123
	s_and_saveexec_b32 s6, vcc_lo
	s_cbranch_execz .LBB0_3
; %bb.2:
	s_load_dwordx2 s[0:1], s[4:5], 0x18
	s_waitcnt lgkmcnt(0)
	v_add_co_u32 v64, s7, s8, v122
	v_add_co_ci_u32_e64 v65, null, s9, 0, s7
	v_lshlrev_b32_e32 v20, 3, v121
	global_load_dwordx2 v[0:1], v122, s[8:9] offset:1920
	v_add_nc_u32_e32 v71, 0xc00, v122
	v_add_nc_u32_e32 v70, 0x400, v122
	;; [unrolled: 1-line block ×7, first 2 shown]
	s_load_dwordx4 s[12:15], s[0:1], 0x0
	v_add_co_u32 v2, s0, 0x800, v64
	v_add_co_ci_u32_e64 v3, s0, 0, v65, s0
	v_add_co_u32 v4, s0, 0x1000, v64
	v_add_co_ci_u32_e64 v5, s0, 0, v65, s0
	s_clause 0x6
	global_load_dwordx2 v[16:17], v122, s[8:9] offset:960
	global_load_dwordx2 v[18:19], v122, s[8:9]
	global_load_dwordx2 v[20:21], v20, s[8:9]
	global_load_dwordx2 v[22:23], v[2:3], off offset:832
	global_load_dwordx2 v[2:3], v[2:3], off offset:1792
	;; [unrolled: 1-line block ×4, first 2 shown]
	v_add_co_u32 v6, s0, 0x1800, v64
	v_add_co_ci_u32_e64 v7, s0, 0, v65, s0
	v_add_co_u32 v8, s0, 0x2000, v64
	v_add_co_ci_u32_e64 v9, s0, 0, v65, s0
	v_add_co_u32 v10, s0, 0x2800, v64
	s_waitcnt lgkmcnt(0)
	v_mad_u64_u32 v[12:13], null, s14, v108, 0
	v_mad_u64_u32 v[14:15], null, s12, v123, 0
	v_add_co_ci_u32_e64 v11, s0, 0, v65, s0
	s_mul_i32 s1, s13, 0x3c0
	s_mul_hi_u32 s7, s12, 0x3c0
	s_add_i32 s7, s7, s1
	v_mad_u64_u32 v[26:27], null, s15, v108, v[13:14]
	v_mad_u64_u32 v[27:28], null, s12, v121, 0
	s_mulk_i32 s12, 0x3c0
	v_mov_b32_e32 v13, v26
	v_mov_b32_e32 v26, v28
	v_lshlrev_b64 v[12:13], 3, v[12:13]
	v_add_co_u32 v34, s0, s2, v12
	v_add_co_ci_u32_e64 v35, s0, s3, v13, s0
	s_waitcnt vmcnt(6)
	v_mad_u64_u32 v[29:30], null, s13, v123, v[15:16]
	s_clause 0x3
	global_load_dwordx2 v[30:31], v[6:7], off offset:576
	global_load_dwordx2 v[6:7], v[6:7], off offset:1536
	;; [unrolled: 1-line block ×4, first 2 shown]
	v_mov_b32_e32 v15, v29
	v_mad_u64_u32 v[28:29], null, s13, v121, v[26:27]
	v_lshlrev_b64 v[14:15], 3, v[14:15]
	v_lshlrev_b64 v[26:27], 3, v[27:28]
	v_add_co_u32 v12, s0, v34, v14
	v_add_co_ci_u32_e64 v13, s0, v35, v15, s0
	v_add_co_u32 v14, s0, v12, s12
	v_add_co_ci_u32_e64 v15, s0, s7, v13, s0
	;; [unrolled: 2-line block ×5, first 2 shown]
	global_load_dwordx2 v[26:27], v[26:27], off
	v_add_co_u32 v36, s0, v34, s12
	v_add_co_ci_u32_e64 v37, s0, s7, v35, s0
	s_clause 0x3
	global_load_dwordx2 v[12:13], v[12:13], off
	global_load_dwordx2 v[14:15], v[14:15], off
	;; [unrolled: 1-line block ×4, first 2 shown]
	v_add_co_u32 v38, s0, v36, s12
	v_add_co_ci_u32_e64 v39, s0, s7, v37, s0
	global_load_dwordx2 v[36:37], v[36:37], off
	v_add_co_u32 v40, s0, v38, s12
	v_add_co_ci_u32_e64 v41, s0, s7, v39, s0
	global_load_dwordx2 v[38:39], v[38:39], off
	;; [unrolled: 3-line block ×8, first 2 shown]
	v_add_co_u32 v54, s0, v52, s12
	v_add_co_ci_u32_e64 v55, s0, s7, v53, s0
	v_add_co_u32 v56, s0, 0x3000, v64
	v_add_co_ci_u32_e64 v57, s0, 0, v65, s0
	global_load_dwordx2 v[52:53], v[52:53], off
	s_clause 0x1
	global_load_dwordx2 v[58:59], v[10:11], off offset:320
	global_load_dwordx2 v[10:11], v[10:11], off offset:1280
	global_load_dwordx2 v[60:61], v[54:55], off
	global_load_dwordx2 v[62:63], v[56:57], off offset:192
	v_add_co_u32 v54, s0, v54, s12
	v_add_co_ci_u32_e64 v55, s0, s7, v55, s0
	v_add_co_u32 v64, s0, 0x3800, v64
	v_add_co_ci_u32_e64 v65, s0, 0, v65, s0
	;; [unrolled: 2-line block ×3, first 2 shown]
	global_load_dwordx2 v[54:55], v[54:55], off
	s_clause 0x1
	global_load_dwordx2 v[56:57], v[56:57], off offset:1152
	global_load_dwordx2 v[64:65], v[64:65], off offset:64
	global_load_dwordx2 v[66:67], v[66:67], off
	s_waitcnt vmcnt(20)
	v_mul_f32_e32 v68, v13, v19
	v_mul_f32_e32 v69, v12, v19
	;; [unrolled: 1-line block ×4, first 2 shown]
	v_fmac_f32_e32 v68, v12, v18
	v_fma_f32 v69, v13, v18, -v69
	s_waitcnt vmcnt(19)
	v_mul_f32_e32 v13, v14, v17
	v_mul_f32_e32 v12, v15, v17
	s_waitcnt vmcnt(18)
	v_mul_f32_e32 v17, v29, v1
	v_mul_f32_e32 v1, v28, v1
	v_fmac_f32_e32 v19, v26, v20
	v_fma_f32 v13, v15, v16, -v13
	v_fmac_f32_e32 v12, v14, v16
	v_fmac_f32_e32 v17, v28, v0
	v_fma_f32 v18, v29, v0, -v1
	s_waitcnt vmcnt(17)
	v_mul_f32_e32 v1, v34, v23
	s_waitcnt vmcnt(16)
	v_mul_f32_e32 v0, v37, v3
	v_mul_f32_e32 v3, v36, v3
	v_fma_f32 v20, v27, v20, -v21
	v_mul_f32_e32 v15, v35, v23
	v_fma_f32 v16, v35, v22, -v1
	v_fmac_f32_e32 v0, v36, v2
	v_fma_f32 v1, v37, v2, -v3
	s_waitcnt vmcnt(14)
	v_mul_f32_e32 v2, v41, v5
	v_mul_f32_e32 v3, v40, v5
	;; [unrolled: 1-line block ×4, first 2 shown]
	s_waitcnt vmcnt(12)
	v_mul_f32_e32 v5, v45, v7
	v_fmac_f32_e32 v2, v40, v4
	v_fma_f32 v3, v41, v4, -v3
	v_mul_f32_e32 v4, v44, v7
	v_fmac_f32_e32 v15, v34, v22
	v_fmac_f32_e32 v5, v44, v6
	v_fmac_f32_e32 v21, v38, v24
	v_fma_f32 v22, v39, v24, -v14
	v_fma_f32 v6, v45, v6, -v4
	ds_write2_b64 v122, v[68:69], v[12:13] offset1:120
	ds_write2_b64 v70, v[17:18], v[15:16] offset0:112 offset1:232
	s_waitcnt vmcnt(10)
	v_mul_f32_e32 v7, v49, v9
	v_mul_f32_e32 v4, v48, v9
	ds_write2_b64 v71, v[0:1], v[21:22] offset0:96 offset1:216
	v_mul_f32_e32 v0, v43, v31
	v_mul_f32_e32 v1, v42, v31
	v_fmac_f32_e32 v7, v48, v8
	v_fma_f32 v8, v49, v8, -v4
	v_mul_f32_e32 v12, v47, v33
	v_mul_f32_e32 v13, v46, v33
	v_fmac_f32_e32 v0, v42, v30
	v_fma_f32 v1, v43, v30, -v1
	s_waitcnt vmcnt(7)
	v_mul_f32_e32 v4, v50, v59
	s_waitcnt vmcnt(6)
	v_mul_f32_e32 v9, v53, v11
	v_mul_f32_e32 v11, v52, v11
	;; [unrolled: 1-line block ×3, first 2 shown]
	s_waitcnt vmcnt(4)
	v_mul_f32_e32 v16, v61, v63
	v_fma_f32 v15, v51, v58, -v4
	v_mul_f32_e32 v4, v60, v63
	v_fmac_f32_e32 v9, v52, v10
	v_fma_f32 v10, v53, v10, -v11
	v_fmac_f32_e32 v12, v46, v32
	v_fma_f32 v13, v47, v32, -v13
	v_fmac_f32_e32 v14, v50, v58
	v_fmac_f32_e32 v16, v60, v62
	v_fma_f32 v17, v61, v62, -v4
	s_waitcnt vmcnt(2)
	v_mul_f32_e32 v21, v55, v57
	v_mul_f32_e32 v11, v54, v57
	s_waitcnt vmcnt(0)
	v_mul_f32_e32 v23, v67, v65
	v_mul_f32_e32 v18, v66, v65
	v_fmac_f32_e32 v21, v54, v56
	v_fma_f32 v22, v55, v56, -v11
	v_fmac_f32_e32 v23, v66, v64
	v_fma_f32 v24, v67, v64, -v18
	ds_write2_b64 v72, v[2:3], v[0:1] offset0:80 offset1:200
	ds_write2_b64 v73, v[5:6], v[12:13] offset0:64 offset1:184
	;; [unrolled: 1-line block ×5, first 2 shown]
	ds_write_b64 v122, v[19:20] offset:15360
.LBB0_3:
	s_or_b32 exec_lo, exec_lo, s6
	s_clause 0x1
	s_load_dwordx2 s[0:1], s[4:5], 0x20
	s_load_dwordx2 s[2:3], s[4:5], 0x8
	v_mov_b32_e32 v0, 0
	v_mov_b32_e32 v1, 0
	s_waitcnt lgkmcnt(0)
	s_barrier
	buffer_gl0_inv
                                        ; implicit-def: $vgpr14
                                        ; implicit-def: $vgpr8
                                        ; implicit-def: $vgpr4
                                        ; implicit-def: $vgpr32
                                        ; implicit-def: $vgpr22
                                        ; implicit-def: $vgpr30
                                        ; implicit-def: $vgpr18
                                        ; implicit-def: $vgpr26
                                        ; kill: def $vgpr2 killed $sgpr0 killed $exec
	s_and_saveexec_b32 s4, vcc_lo
	s_cbranch_execz .LBB0_5
; %bb.4:
	v_add_nc_u32_e32 v4, 0x400, v122
	v_add_nc_u32_e32 v5, 0xc00, v122
	;; [unrolled: 1-line block ×3, first 2 shown]
	ds_read2_b64 v[0:3], v122 offset1:120
	v_add_nc_u32_e32 v7, 0x2c00, v122
	ds_read2_b64 v[24:27], v4 offset0:112 offset1:232
	ds_read2_b64 v[16:19], v5 offset0:96 offset1:216
	v_add_nc_u32_e32 v4, 0x1c00, v122
	v_add_nc_u32_e32 v5, 0x2400, v122
	;; [unrolled: 1-line block ×3, first 2 shown]
	ds_read2_b64 v[28:31], v6 offset0:80 offset1:200
	ds_read2_b64 v[20:23], v4 offset0:64 offset1:184
	;; [unrolled: 1-line block ×5, first 2 shown]
	ds_read_b64 v[32:33], v122 offset:15360
.LBB0_5:
	s_or_b32 exec_lo, exec_lo, s4
	s_waitcnt lgkmcnt(0)
	v_sub_f32_e32 v40, v3, v33
	v_add_f32_e32 v42, v32, v2
	v_sub_f32_e32 v41, v2, v32
	v_sub_f32_e32 v84, v25, v7
	v_add_f32_e32 v43, v33, v3
	v_mul_f32_e32 v52, 0xbeb8f4ab, v40
	v_add_f32_e32 v44, v6, v24
	v_sub_f32_e32 v98, v24, v6
	v_mul_f32_e32 v55, 0xbeb8f4ab, v41
	v_mul_f32_e32 v49, 0xbf2c7751, v84
	v_fmamk_f32 v34, v42, 0x3f6eb680, v52
	v_sub_f32_e32 v94, v27, v5
	v_add_f32_e32 v45, v7, v25
	v_mul_f32_e32 v54, 0xbf2c7751, v98
	v_fma_f32 v35, 0x3f6eb680, v43, -v55
	v_fmamk_f32 v36, v44, 0x3f3d2fb0, v49
	v_add_f32_e32 v34, v34, v0
	v_add_f32_e32 v46, v4, v26
	v_mul_f32_e32 v53, 0xbf65296c, v94
	v_sub_f32_e32 v104, v26, v4
	v_fma_f32 v37, 0x3f3d2fb0, v45, -v54
	v_add_f32_e32 v35, v35, v1
	v_add_f32_e32 v34, v36, v34
	;; [unrolled: 1-line block ×3, first 2 shown]
	v_sub_f32_e32 v100, v17, v11
	v_fmamk_f32 v36, v46, 0x3ee437d1, v53
	v_mul_f32_e32 v62, 0xbf65296c, v104
	v_sub_f32_e32 v114, v16, v10
	v_add_f32_e32 v35, v37, v35
	v_add_f32_e32 v48, v10, v16
	v_mul_f32_e32 v58, 0xbf7ee86f, v100
	v_add_f32_e32 v34, v36, v34
	v_fma_f32 v36, 0x3ee437d1, v47, -v62
	v_add_f32_e32 v50, v11, v17
	v_mul_f32_e32 v63, 0xbf7ee86f, v114
	v_sub_f32_e32 v105, v19, v9
	v_fmamk_f32 v37, v48, 0x3dbcf732, v58
	v_add_f32_e32 v35, v36, v35
	v_add_f32_e32 v51, v8, v18
	v_fma_f32 v36, 0x3dbcf732, v50, -v63
	v_mul_f32_e32 v72, 0xbf763a35, v105
	v_sub_f32_e32 v118, v18, v8
	v_add_f32_e32 v34, v37, v34
	v_add_f32_e32 v57, v9, v19
	;; [unrolled: 1-line block ×3, first 2 shown]
	v_fmamk_f32 v36, v51, 0xbe8c1d8e, v72
	v_mul_f32_e32 v76, 0xbf763a35, v118
	v_sub_f32_e32 v117, v28, v14
	v_sub_f32_e32 v115, v29, v15
	v_add_f32_e32 v59, v15, v29
	v_add_f32_e32 v34, v36, v34
	v_fma_f32 v36, 0xbe8c1d8e, v57, -v76
	v_mul_f32_e32 v77, 0xbf4c4adb, v117
	v_sub_f32_e32 v120, v30, v12
	v_add_f32_e32 v56, v14, v28
	v_mul_f32_e32 v75, 0xbf4c4adb, v115
	v_sub_f32_e32 v119, v31, v13
	v_add_f32_e32 v35, v36, v35
	v_fma_f32 v36, 0xbf1a4643, v59, -v77
	v_add_f32_e32 v74, v13, v31
	v_mul_f32_e32 v81, 0xbf06c442, v120
	v_fmamk_f32 v37, v56, 0xbf1a4643, v75
	v_add_f32_e32 v73, v12, v30
	v_mul_f32_e32 v80, 0xbf06c442, v119
	v_add_f32_e32 v35, v36, v35
	v_fma_f32 v36, 0xbf59a7d5, v74, -v81
	v_mul_f32_e32 v85, 0xbf2c7751, v40
	v_add_f32_e32 v34, v37, v34
	v_fmamk_f32 v37, v73, 0xbf59a7d5, v80
	v_mul_f32_e32 v86, 0xbf7ee86f, v84
	v_add_f32_e32 v35, v36, v35
	v_fmamk_f32 v36, v42, 0x3f3d2fb0, v85
	v_mul_f32_e32 v93, 0xbf2c7751, v41
	v_add_f32_e32 v34, v37, v34
	v_fmamk_f32 v37, v44, 0x3dbcf732, v86
	v_mul_f32_e32 v96, 0xbf7ee86f, v98
	v_add_f32_e32 v36, v36, v0
	v_fma_f32 v38, 0x3f3d2fb0, v43, -v93
	v_mul_f32_e32 v87, 0xbf4c4adb, v94
	v_sub_f32_e32 v129, v21, v23
	v_mul_f32_e32 v91, 0xbf4c4adb, v104
	v_add_f32_e32 v36, v37, v36
	v_add_f32_e32 v37, v38, v1
	v_fma_f32 v38, 0x3dbcf732, v45, -v96
	v_fmamk_f32 v39, v46, 0xbf1a4643, v87
	v_mul_f32_e32 v88, 0xbe3c28d5, v100
	v_sub_f32_e32 v130, v20, v22
	v_add_f32_e32 v78, v22, v20
	v_mul_f32_e32 v82, 0xbe3c28d5, v129
	v_add_f32_e32 v37, v38, v37
	v_add_f32_e32 v36, v39, v36
	v_fma_f32 v38, 0xbf1a4643, v47, -v91
	v_fmamk_f32 v39, v48, 0xbf7ba420, v88
	v_mul_f32_e32 v92, 0xbe3c28d5, v114
	v_mul_f32_e32 v89, 0x3f06c442, v105
	v_add_f32_e32 v79, v23, v21
	v_mul_f32_e32 v83, 0xbe3c28d5, v130
	v_fmamk_f32 v60, v78, 0xbf7ba420, v82
	v_add_f32_e32 v37, v38, v37
	v_add_f32_e32 v36, v39, v36
	v_fma_f32 v38, 0xbf7ba420, v50, -v92
	v_mul_f32_e32 v95, 0x3f06c442, v118
	v_fmamk_f32 v39, v51, 0xbf59a7d5, v89
	v_mul_f32_e32 v90, 0x3f763a35, v115
	v_fma_f32 v61, 0xbf7ba420, v79, -v83
	v_add_f32_e32 v60, v60, v34
	v_add_f32_e32 v34, v38, v37
	v_fma_f32 v37, 0xbf59a7d5, v57, -v95
	v_add_f32_e32 v36, v39, v36
	v_fmamk_f32 v38, v56, 0xbe8c1d8e, v90
	v_mul_f32_e32 v97, 0x3f763a35, v117
	v_mul_f32_e32 v116, 0xbf65296c, v40
	v_add_f32_e32 v61, v61, v35
	v_add_f32_e32 v34, v37, v34
	v_add_f32_e32 v35, v38, v36
	v_fma_f32 v36, 0xbe8c1d8e, v59, -v97
	v_mul_f32_e32 v99, 0x3f65296c, v119
	v_fmamk_f32 v37, v42, 0x3ee437d1, v116
	v_mul_f32_e32 v109, 0xbf4c4adb, v84
	v_mul_f32_e32 v106, 0x3e3c28d5, v94
	v_add_f32_e32 v34, v36, v34
	v_fmamk_f32 v36, v73, 0x3ee437d1, v99
	v_add_f32_e32 v37, v37, v0
	v_fmamk_f32 v39, v44, 0xbf1a4643, v109
	v_mul_f32_e32 v107, 0x3f763a35, v100
	v_mul_f32_e32 v127, 0xbf65296c, v41
	v_add_f32_e32 v35, v36, v35
	v_mul_f32_e32 v110, 0x3f2c7751, v105
	v_add_f32_e32 v36, v39, v37
	v_fmamk_f32 v37, v46, 0xbf7ba420, v106
	v_mul_f32_e32 v102, 0x3f65296c, v120
	v_fma_f32 v64, 0x3ee437d1, v43, -v127
	v_mul_f32_e32 v128, 0xbf4c4adb, v98
	v_mul_f32_e32 v111, 0xbeb8f4ab, v115
	v_add_f32_e32 v36, v37, v36
	v_fmamk_f32 v37, v48, 0xbe8c1d8e, v107
	v_fma_f32 v38, 0x3ee437d1, v74, -v102
	v_mul_f32_e32 v101, 0x3eb8f4ab, v129
	v_add_f32_e32 v64, v64, v1
	v_fma_f32 v65, 0xbf1a4643, v45, -v128
	v_add_f32_e32 v36, v37, v36
	v_fmamk_f32 v37, v51, 0x3f3d2fb0, v110
	v_mul_f32_e32 v126, 0x3e3c28d5, v104
	v_mul_f32_e32 v112, 0xbf7ee86f, v119
	v_add_f32_e32 v34, v38, v34
	v_fmamk_f32 v38, v78, 0x3f6eb680, v101
	v_add_f32_e32 v36, v37, v36
	v_fmamk_f32 v37, v56, 0x3f6eb680, v111
	v_add_f32_e32 v64, v65, v64
	v_fma_f32 v65, 0xbf7ba420, v47, -v126
	v_mul_f32_e32 v125, 0x3f763a35, v114
	v_mul_f32_e32 v113, 0xbf06c442, v129
	v_add_f32_e32 v36, v37, v36
	v_fmamk_f32 v37, v73, 0x3dbcf732, v112
	v_mul_f32_e32 v103, 0x3eb8f4ab, v130
	v_add_f32_e32 v64, v65, v64
	v_fma_f32 v65, 0xbe8c1d8e, v50, -v125
	v_mul_f32_e32 v124, 0x3f2c7751, v118
	v_add_f32_e32 v66, v38, v35
	v_add_f32_e32 v35, v37, v36
	v_fmamk_f32 v36, v78, 0xbf59a7d5, v113
	v_mul_f32_e32 v141, 0xbf7ee86f, v40
	v_fma_f32 v39, 0x3f6eb680, v79, -v103
	v_add_f32_e32 v37, v65, v64
	v_fma_f32 v38, 0x3f3d2fb0, v57, -v124
	v_add_f32_e32 v64, v36, v35
	v_fmamk_f32 v35, v42, 0x3dbcf732, v141
	v_mul_f32_e32 v134, 0xbe3c28d5, v84
	v_add_f32_e32 v67, v39, v34
	v_add_f32_e32 v34, v38, v37
	v_mul_f32_e32 v135, 0x3f763a35, v94
	v_add_f32_e32 v35, v35, v0
	v_fmamk_f32 v37, v44, 0xbf7ba420, v134
	v_mul_f32_e32 v136, 0x3eb8f4ab, v100
	v_mul_f32_e32 v137, 0xbf65296c, v105
	v_mul_f32_e32 v138, 0xbf06c442, v115
	v_mul_f32_e32 v140, 0x3f4c4adb, v119
	v_add_f32_e32 v35, v37, v35
	v_fmamk_f32 v37, v46, 0xbe8c1d8e, v135
	v_mul_f32_e32 v142, 0xbf7ee86f, v41
	v_mul_f32_e32 v150, 0xbf763a35, v40
	;; [unrolled: 1-line block ×4, first 2 shown]
	v_add_f32_e32 v35, v37, v35
	v_fmamk_f32 v37, v48, 0x3f6eb680, v136
	v_fma_f32 v36, 0x3dbcf732, v43, -v142
	v_mul_f32_e32 v157, 0x3f06c442, v84
	v_fma_f32 v65, 0xbe8c1d8e, v43, -v163
	v_mul_f32_e32 v165, 0x3f06c442, v98
	v_add_f32_e32 v35, v37, v35
	v_fmamk_f32 v37, v51, 0x3ee437d1, v137
	v_add_f32_e32 v36, v36, v1
	v_fma_f32 v38, 0xbf7ba420, v45, -v143
	v_mul_f32_e32 v144, 0x3f763a35, v104
	v_fmamk_f32 v68, v44, 0xbf59a7d5, v157
	v_add_f32_e32 v35, v37, v35
	v_fmamk_f32 v37, v56, 0xbf59a7d5, v138
	v_mul_f32_e32 v156, 0x3f2c7751, v94
	v_add_f32_e32 v65, v65, v1
	v_fma_f32 v69, 0xbf59a7d5, v45, -v165
	v_mul_f32_e32 v164, 0x3f2c7751, v104
	v_add_f32_e32 v35, v37, v35
	v_fmamk_f32 v37, v73, 0xbf1a4643, v140
	v_add_f32_e32 v36, v38, v36
	v_fma_f32 v38, 0xbe8c1d8e, v47, -v144
	v_mul_f32_e32 v145, 0x3eb8f4ab, v114
	v_mul_f32_e32 v155, 0xbf65296c, v100
	v_add_f32_e32 v35, v37, v35
	v_fmamk_f32 v37, v42, 0xbe8c1d8e, v150
	v_add_f32_e32 v65, v69, v65
	v_fma_f32 v69, 0x3f3d2fb0, v47, -v164
	v_mul_f32_e32 v162, 0xbf65296c, v114
	v_add_f32_e32 v36, v38, v36
	v_add_f32_e32 v37, v37, v0
	v_fma_f32 v38, 0x3f6eb680, v50, -v145
	v_mul_f32_e32 v146, 0xbf65296c, v118
	v_mul_f32_e32 v154, 0xbe3c28d5, v105
	v_add_f32_e32 v65, v69, v65
	v_add_f32_e32 v37, v68, v37
	v_fmamk_f32 v68, v46, 0x3f3d2fb0, v156
	v_fma_f32 v69, 0x3ee437d1, v50, -v162
	v_mul_f32_e32 v161, 0xbe3c28d5, v118
	v_mul_f32_e32 v131, 0xbeb8f4ab, v117
	v_add_f32_e32 v36, v38, v36
	v_add_f32_e32 v37, v68, v37
	v_fmamk_f32 v68, v48, 0x3ee437d1, v155
	;; [unrolled: 6-line block ×3, first 2 shown]
	v_fma_f32 v69, 0xbf7ba420, v57, -v161
	v_mul_f32_e32 v160, 0x3f7ee86f, v117
	v_fma_f32 v39, 0x3f6eb680, v59, -v131
	v_mul_f32_e32 v133, 0xbf7ee86f, v120
	v_add_f32_e32 v36, v38, v36
	v_fma_f32 v38, 0xbf59a7d5, v59, -v147
	v_mul_f32_e32 v148, 0x3f4c4adb, v120
	v_add_f32_e32 v37, v68, v37
	v_fmamk_f32 v68, v56, 0x3dbcf732, v153
	v_mul_f32_e32 v152, 0xbeb8f4ab, v119
	v_add_f32_e32 v65, v69, v65
	v_fma_f32 v69, 0x3dbcf732, v59, -v160
	v_mul_f32_e32 v159, 0xbeb8f4ab, v120
	v_add_f32_e32 v34, v39, v34
	v_fma_f32 v39, 0x3dbcf732, v74, -v133
	;; [unrolled: 3-line block ×3, first 2 shown]
	v_mul_f32_e32 v139, 0x3f2c7751, v129
	v_mul_f32_e32 v149, 0x3f2c7751, v130
	v_add_f32_e32 v37, v68, v37
	v_fmamk_f32 v68, v73, 0x3f6eb680, v152
	v_mul_f32_e32 v151, 0xbf4c4adb, v129
	v_add_f32_e32 v65, v69, v65
	v_fma_f32 v69, 0x3f6eb680, v74, -v159
	v_mul_f32_e32 v158, 0xbf4c4adb, v130
	v_add_f32_e32 v34, v39, v34
	v_fma_f32 v39, 0xbf59a7d5, v79, -v132
	v_add_f32_e32 v36, v38, v36
	v_fmamk_f32 v38, v78, 0x3f3d2fb0, v139
	v_fma_f32 v71, 0x3f3d2fb0, v79, -v149
	v_add_f32_e32 v37, v68, v37
	v_fmamk_f32 v68, v78, 0xbf1a4643, v151
	v_add_f32_e32 v69, v69, v65
	v_fma_f32 v166, 0xbf1a4643, v79, -v158
	v_add_f32_e32 v65, v39, v34
	v_add_f32_e32 v70, v38, v35
	;; [unrolled: 1-line block ×5, first 2 shown]
	s_barrier
	buffer_gl0_inv
	s_and_saveexec_b32 s4, vcc_lo
	s_cbranch_execz .LBB0_7
; %bb.6:
	v_mul_f32_e32 v38, 0xbf59a7d5, v43
	v_mul_f32_e32 v166, 0x3ee437d1, v45
	;; [unrolled: 1-line block ×5, first 2 shown]
	v_fmamk_f32 v34, v41, 0x3f06c442, v38
	v_fmamk_f32 v35, v98, 0xbf65296c, v166
	;; [unrolled: 1-line block ×3, first 2 shown]
	v_mul_f32_e32 v169, 0x3f6eb680, v57
	v_mul_f32_e32 v174, 0x3f65296c, v84
	v_add_f32_e32 v34, v34, v1
	v_fmamk_f32 v37, v42, 0xbf59a7d5, v173
	v_mul_f32_e32 v170, 0xbf7ba420, v59
	v_mul_f32_e32 v175, 0xbf7ee86f, v94
	v_fmamk_f32 v39, v118, 0x3eb8f4ab, v169
	v_add_f32_e32 v34, v35, v34
	v_fmamk_f32 v35, v114, 0xbf4c4adb, v168
	v_fmamk_f32 v178, v44, 0x3ee437d1, v174
	v_add_f32_e32 v37, v37, v0
	v_mul_f32_e32 v171, 0x3f3d2fb0, v74
	v_add_f32_e32 v34, v36, v34
	v_mul_f32_e32 v36, 0xbf7ba420, v43
	v_mul_f32_e32 v176, 0x3f4c4adb, v100
	;; [unrolled: 1-line block ×3, first 2 shown]
	v_fmamk_f32 v180, v46, 0x3dbcf732, v175
	v_add_f32_e32 v34, v35, v34
	v_fmamk_f32 v35, v117, 0x3e3c28d5, v170
	v_add_f32_e32 v37, v178, v37
	v_fmamk_f32 v181, v41, 0x3e3c28d5, v36
	v_mul_f32_e32 v183, 0xbe3c28d5, v40
	v_add_f32_e32 v34, v39, v34
	v_mul_f32_e32 v177, 0xbeb8f4ab, v105
	v_fmamk_f32 v39, v120, 0xbf2c7751, v171
	v_fmamk_f32 v178, v48, 0xbf1a4643, v176
	v_add_f32_e32 v37, v180, v37
	v_add_f32_e32 v34, v35, v34
	v_mul_f32_e32 v180, 0xbf59a7d5, v47
	v_fmamk_f32 v35, v98, 0xbeb8f4ab, v179
	v_add_f32_e32 v181, v181, v1
	v_fmamk_f32 v186, v42, 0xbf7ba420, v183
	v_mul_f32_e32 v187, 0x3eb8f4ab, v84
	v_add_f32_e32 v37, v178, v37
	v_add_f32_e32 v34, v39, v34
	v_fmamk_f32 v39, v51, 0x3f6eb680, v177
	v_mul_f32_e32 v178, 0xbe3c28d5, v115
	v_add_f32_e32 v35, v35, v181
	v_fmamk_f32 v181, v104, 0x3f06c442, v180
	v_mul_f32_e32 v182, 0x3f3d2fb0, v50
	;; [unrolled: 3-line block ×6, first 2 shown]
	v_mul_f32_e32 v172, 0xbe8c1d8e, v79
	v_add_f32_e32 v37, v39, v37
	v_fmamk_f32 v39, v73, 0x3f3d2fb0, v184
	v_mul_f32_e32 v188, 0xbf763a35, v129
	v_add_f32_e32 v35, v181, v35
	v_fmamk_f32 v181, v118, 0x3f4c4adb, v185
	;; [unrolled: 3-line block ×3, first 2 shown]
	v_mul_f32_e32 v194, 0xbf4c4adb, v105
	v_fmamk_f32 v193, v130, 0x3f763a35, v172
	v_add_f32_e32 v37, v39, v37
	v_fmamk_f32 v39, v78, 0xbe8c1d8e, v188
	v_add_f32_e32 v181, v181, v35
	;; [unrolled: 2-line block ×3, first 2 shown]
	v_fmamk_f32 v189, v51, 0xbf1a4643, v194
	v_mul_f32_e32 v197, 0x3f65296c, v115
	v_add_f32_e32 v35, v193, v34
	v_add_f32_e32 v34, v39, v37
	;; [unrolled: 1-line block ×4, first 2 shown]
	v_fmamk_f32 v181, v56, 0x3ee437d1, v197
	v_mul_f32_e32 v189, 0xbf763a35, v119
	v_fmac_f32_e32 v38, 0xbf06c442, v41
	v_fmac_f32_e32 v166, 0x3f65296c, v98
	v_fma_f32 v173, 0xbf59a7d5, v42, -v173
	v_add_f32_e32 v39, v181, v39
	v_fmamk_f32 v181, v73, 0xbe8c1d8e, v189
	v_fmac_f32_e32 v167, 0xbf7ee86f, v104
	v_fma_f32 v174, 0x3ee437d1, v44, -v174
	v_add_f32_e32 v173, v173, v0
	v_fmac_f32_e32 v168, 0x3f4c4adb, v114
	v_add_f32_e32 v39, v181, v39
	v_fma_f32 v181, 0xbf59a7d5, v46, -v190
	v_add_f32_e32 v190, v38, v1
	v_add_f32_e32 v173, v174, v173
	v_fma_f32 v174, 0x3dbcf732, v46, -v175
	v_fmac_f32_e32 v169, 0xbeb8f4ab, v118
	v_fmac_f32_e32 v170, 0xbe3c28d5, v117
	v_add_f32_e32 v166, v166, v190
	v_fmac_f32_e32 v36, 0xbe3c28d5, v41
	v_add_f32_e32 v173, v174, v173
	v_fma_f32 v174, 0xbf1a4643, v48, -v176
	v_fmac_f32_e32 v179, 0x3eb8f4ab, v98
	v_add_f32_e32 v166, v167, v166
	v_fmac_f32_e32 v171, 0x3f2c7751, v120
	v_mul_f32_e32 v98, 0x3f763a35, v98
	v_add_f32_e32 v173, v174, v173
	v_fma_f32 v174, 0x3f6eb680, v51, -v177
	v_add_f32_e32 v166, v168, v166
	v_mul_f32_e32 v177, 0xbf4c4adb, v41
	v_fmac_f32_e32 v180, 0xbf06c442, v104
	v_fmac_f32_e32 v182, 0x3f2c7751, v114
	;; [unrolled: 1-line block ×3, first 2 shown]
	v_add_f32_e32 v166, v169, v166
	v_mul_f32_e32 v118, 0x3f7ee86f, v118
	v_fma_f32 v183, 0xbf7ba420, v42, -v183
	v_add_f32_e32 v36, v36, v1
	v_fma_f32 v187, 0x3f6eb680, v44, -v187
	v_add_f32_e32 v41, v170, v166
	v_fmamk_f32 v170, v43, 0xbf1a4643, v177
	v_add_f32_e32 v166, v174, v173
	v_fma_f32 v174, 0xbf7ba420, v56, -v178
	v_mul_f32_e32 v178, 0xbeb8f4ab, v104
	v_add_f32_e32 v41, v171, v41
	v_add_f32_e32 v170, v170, v1
	v_fmamk_f32 v171, v45, 0xbe8c1d8e, v98
	v_add_f32_e32 v104, v174, v166
	v_fma_f32 v174, 0x3f3d2fb0, v73, -v184
	v_mul_f32_e32 v184, 0xbf06c442, v114
	v_fma_f32 v114, 0xbe8c1d8e, v78, -v188
	v_add_f32_e32 v170, v171, v170
	v_fmamk_f32 v171, v47, 0x3f6eb680, v178
	v_add_f32_e32 v104, v174, v104
	v_mul_f32_e32 v174, 0xbf4c4adb, v40
	v_add_f32_e32 v183, v183, v0
	v_add_f32_e32 v36, v179, v36
	;; [unrolled: 1-line block ×3, first 2 shown]
	v_fmamk_f32 v171, v50, 0xbf59a7d5, v184
	v_add_f32_e32 v40, v114, v104
	v_fmamk_f32 v114, v57, 0x3dbcf732, v118
	v_mul_f32_e32 v175, 0xbe8c1d8e, v43
	v_mul_f32_e32 v94, 0xbeb8f4ab, v94
	v_add_f32_e32 v104, v171, v170
	v_fma_f32 v170, 0xbf1a4643, v42, -v174
	v_mul_f32_e32 v171, 0x3f763a35, v84
	v_add_f32_e32 v179, v187, v183
	v_add_f32_e32 v36, v180, v36
	;; [unrolled: 1-line block ×4, first 2 shown]
	v_fma_f32 v170, 0xbe8c1d8e, v44, -v171
	v_fmac_f32_e32 v191, 0x3f65296c, v117
	v_add_f32_e32 v163, v163, v175
	v_mul_f32_e32 v175, 0xbf59a7d5, v45
	v_mul_f32_e32 v117, 0xbf2c7751, v117
	v_add_f32_e32 v114, v170, v114
	v_fma_f32 v170, 0x3f6eb680, v46, -v94
	v_mul_f32_e32 v196, 0xbe8c1d8e, v74
	v_mul_f32_e32 v180, 0x3f7ee86f, v129
	v_add_f32_e32 v179, v181, v179
	v_fma_f32 v181, 0x3f3d2fb0, v48, -v192
	v_add_f32_e32 v36, v182, v36
	v_add_f32_e32 v163, v163, v1
	;; [unrolled: 1-line block ×3, first 2 shown]
	v_mul_f32_e32 v100, 0xbf06c442, v100
	v_mul_f32_e32 v175, 0x3f3d2fb0, v47
	v_add_f32_e32 v114, v170, v114
	v_fmamk_f32 v170, v59, 0x3f3d2fb0, v117
	v_fmamk_f32 v186, v120, 0x3f763a35, v196
	v_mul_f32_e32 v183, 0x3dbcf732, v79
	v_fmamk_f32 v182, v78, 0x3dbcf732, v180
	v_add_f32_e32 v179, v181, v179
	v_fma_f32 v181, 0xbf1a4643, v51, -v194
	v_add_f32_e32 v185, v185, v36
	v_add_f32_e32 v163, v165, v163
	v_fma_f32 v165, 0xbf59a7d5, v48, -v100
	v_mul_f32_e32 v188, 0x3f7ee86f, v105
	v_add_f32_e32 v105, v164, v175
	v_add_f32_e32 v104, v170, v104
	v_mul_f32_e32 v170, 0x3ee437d1, v50
	v_add_f32_e32 v37, v186, v37
	v_fmamk_f32 v186, v130, 0xbf7ee86f, v183
	v_add_f32_e32 v36, v182, v39
	v_add_f32_e32 v39, v181, v179
	v_fma_f32 v179, 0x3ee437d1, v56, -v197
	v_add_f32_e32 v182, v191, v185
	v_fmac_f32_e32 v196, 0xbf763a35, v120
	v_add_f32_e32 v114, v165, v114
	v_fma_f32 v165, 0x3dbcf732, v51, -v188
	v_add_f32_e32 v105, v105, v163
	v_add_f32_e32 v162, v162, v170
	v_mul_f32_e32 v170, 0xbf2c7751, v115
	v_mul_f32_e32 v115, 0xbf7ba420, v57
	v_add_f32_e32 v37, v186, v37
	v_add_f32_e32 v39, v179, v39
	v_fma_f32 v186, 0xbe8c1d8e, v73, -v189
	v_add_f32_e32 v182, v196, v182
	v_fmac_f32_e32 v183, 0x3f7ee86f, v130
	v_add_f32_e32 v114, v165, v114
	v_add_f32_e32 v105, v162, v105
	v_fma_f32 v162, 0x3f3d2fb0, v56, -v170
	v_mul_f32_e32 v120, 0xbe3c28d5, v120
	v_add_f32_e32 v115, v161, v115
	v_mul_f32_e32 v119, 0xbe3c28d5, v119
	v_add_f32_e32 v186, v186, v39
	v_add_f32_e32 v39, v183, v182
	v_mul_f32_e32 v183, 0x3dbcf732, v43
	v_mul_f32_e32 v167, 0xbe8c1d8e, v42
	v_fmac_f32_e32 v172, 0xbf763a35, v130
	v_mul_f32_e32 v161, 0x3dbcf732, v59
	v_add_f32_e32 v114, v162, v114
	v_fmamk_f32 v162, v74, 0xbf7ba420, v120
	v_mul_f32_e32 v130, 0x3f65296c, v130
	v_add_f32_e32 v105, v115, v105
	v_fma_f32 v115, 0xbf7ba420, v73, -v119
	v_mul_f32_e32 v129, 0x3f65296c, v129
	v_add_f32_e32 v41, v172, v41
	v_mul_f32_e32 v172, 0xbf7ba420, v45
	v_mul_f32_e32 v164, 0xbf59a7d5, v44
	v_add_f32_e32 v160, v160, v161
	v_add_f32_e32 v104, v162, v104
	v_fmamk_f32 v162, v79, 0x3ee437d1, v130
	v_add_f32_e32 v114, v115, v114
	v_fma_f32 v115, 0x3ee437d1, v78, -v129
	v_sub_f32_e32 v150, v167, v150
	v_add_f32_e32 v142, v142, v183
	v_add_f32_e32 v160, v160, v105
	;; [unrolled: 1-line block ×4, first 2 shown]
	v_mul_f32_e32 v114, 0xbf1a4643, v79
	v_mul_f32_e32 v167, 0x3f3d2fb0, v46
	v_add_f32_e32 v150, v150, v0
	v_sub_f32_e32 v157, v164, v157
	v_add_f32_e32 v143, v143, v172
	v_add_f32_e32 v142, v142, v1
	;; [unrolled: 1-line block ×3, first 2 shown]
	v_mul_f32_e32 v158, 0xbe8c1d8e, v47
	v_add_f32_e32 v150, v157, v150
	v_sub_f32_e32 v156, v167, v156
	v_add_f32_e32 v142, v143, v142
	v_mul_f32_e32 v143, 0x3ee437d1, v48
	v_mul_f32_e32 v189, 0x3ee437d1, v42
	v_add_f32_e32 v144, v144, v158
	v_add_f32_e32 v150, v156, v150
	v_mul_f32_e32 v156, 0x3f6eb680, v50
	v_sub_f32_e32 v143, v143, v155
	v_mul_f32_e32 v187, 0x3f3d2fb0, v43
	v_fma_f32 v180, 0x3dbcf732, v78, -v180
	v_mul_f32_e32 v182, 0x3dbcf732, v42
	v_mul_f32_e32 v173, 0xbf1a4643, v44
	;; [unrolled: 1-line block ×3, first 2 shown]
	v_add_f32_e32 v142, v144, v142
	v_mul_f32_e32 v144, 0xbf7ba420, v51
	v_add_f32_e32 v145, v145, v156
	v_add_f32_e32 v143, v143, v150
	v_mul_f32_e32 v150, 0x3ee437d1, v57
	v_sub_f32_e32 v116, v189, v116
	v_mul_f32_e32 v179, 0x3f3d2fb0, v42
	v_add_f32_e32 v38, v180, v186
	v_mul_f32_e32 v186, 0x3dbcf732, v45
	v_mul_f32_e32 v84, 0xbf7ba420, v44
	v_add_f32_e32 v159, v159, v161
	v_mul_f32_e32 v162, 0xbf7ba420, v46
	v_sub_f32_e32 v144, v144, v154
	v_add_f32_e32 v142, v145, v142
	v_mul_f32_e32 v145, 0x3dbcf732, v56
	v_add_f32_e32 v146, v146, v150
	v_sub_f32_e32 v141, v182, v141
	v_add_f32_e32 v93, v93, v187
	v_add_f32_e32 v116, v116, v0
	v_sub_f32_e32 v109, v173, v109
	v_mul_f32_e32 v169, 0x3dbcf732, v44
	v_mul_f32_e32 v161, 0xbf1a4643, v47
	v_add_f32_e32 v115, v159, v160
	v_mul_f32_e32 v160, 0xbe8c1d8e, v46
	v_mul_f32_e32 v158, 0xbe8c1d8e, v48
	v_add_f32_e32 v143, v144, v143
	v_mul_f32_e32 v144, 0xbf59a7d5, v59
	v_sub_f32_e32 v145, v145, v153
	v_add_f32_e32 v142, v146, v142
	v_mul_f32_e32 v146, 0x3f6eb680, v73
	v_add_f32_e32 v141, v141, v0
	v_sub_f32_e32 v84, v84, v134
	v_add_f32_e32 v93, v93, v1
	v_add_f32_e32 v96, v96, v186
	v_sub_f32_e32 v85, v179, v85
	v_add_f32_e32 v109, v109, v116
	v_sub_f32_e32 v106, v162, v106
	v_mul_f32_e32 v175, 0xbf1a4643, v46
	v_mul_f32_e32 v167, 0xbf7ba420, v50
	;; [unrolled: 1-line block ×3, first 2 shown]
	v_add_f32_e32 v144, v147, v144
	v_add_f32_e32 v143, v145, v143
	v_sub_f32_e32 v146, v146, v152
	v_mul_f32_e32 v152, 0x3f3d2fb0, v51
	v_add_f32_e32 v84, v84, v141
	v_sub_f32_e32 v135, v160, v135
	v_add_f32_e32 v93, v96, v93
	v_add_f32_e32 v91, v91, v161
	;; [unrolled: 1-line block ×3, first 2 shown]
	v_sub_f32_e32 v86, v169, v86
	v_add_f32_e32 v96, v106, v109
	v_sub_f32_e32 v106, v158, v107
	v_mul_f32_e32 v180, 0x3ee437d1, v43
	v_mul_f32_e32 v157, 0xbf7ba420, v48
	;; [unrolled: 1-line block ×3, first 2 shown]
	v_add_f32_e32 v142, v144, v142
	v_mul_f32_e32 v144, 0xbf1a4643, v78
	v_add_f32_e32 v143, v146, v143
	v_mul_f32_e32 v146, 0x3ee437d1, v51
	v_mul_f32_e32 v134, 0x3f6eb680, v56
	v_add_f32_e32 v84, v135, v84
	v_sub_f32_e32 v136, v156, v136
	v_add_f32_e32 v91, v91, v93
	v_add_f32_e32 v92, v92, v167
	v_add_f32_e32 v85, v86, v85
	v_sub_f32_e32 v86, v175, v87
	v_add_f32_e32 v87, v106, v96
	v_sub_f32_e32 v93, v152, v110
	v_mul_f32_e32 v153, 0xbf59a7d5, v51
	v_sub_f32_e32 v144, v144, v151
	v_mul_f32_e32 v151, 0x3f3d2fb0, v79
	v_add_f32_e32 v127, v127, v180
	v_mul_f32_e32 v180, 0xbe8c1d8e, v59
	v_mul_f32_e32 v156, 0x3dbcf732, v73
	v_add_f32_e32 v84, v136, v84
	v_sub_f32_e32 v137, v146, v137
	v_add_f32_e32 v91, v92, v91
	v_add_f32_e32 v92, v95, v147
	;; [unrolled: 1-line block ×3, first 2 shown]
	v_sub_f32_e32 v86, v157, v88
	v_add_f32_e32 v87, v93, v87
	v_sub_f32_e32 v88, v134, v111
	v_add_f32_e32 v149, v149, v151
	v_mul_f32_e32 v151, 0xbe8c1d8e, v56
	v_mul_f32_e32 v135, 0x3ee437d1, v74
	v_add_f32_e32 v84, v137, v84
	v_mul_f32_e32 v137, 0xbf59a7d5, v78
	v_add_f32_e32 v91, v92, v91
	v_add_f32_e32 v92, v97, v180
	;; [unrolled: 1-line block ×3, first 2 shown]
	v_sub_f32_e32 v86, v153, v89
	v_add_f32_e32 v87, v88, v87
	v_sub_f32_e32 v88, v156, v112
	v_mul_f32_e32 v185, 0x3f6eb680, v43
	v_add_f32_e32 v89, v92, v91
	v_add_f32_e32 v91, v102, v135
	v_add_f32_e32 v85, v86, v85
	v_sub_f32_e32 v86, v151, v90
	v_add_f32_e32 v87, v88, v87
	v_sub_f32_e32 v88, v137, v113
	v_add_f32_e32 v3, v3, v1
	v_add_f32_e32 v2, v2, v0
	v_mul_f32_e32 v176, 0x3f3d2fb0, v45
	v_add_f32_e32 v89, v91, v89
	v_add_f32_e32 v91, v86, v85
	;; [unrolled: 1-line block ×6, first 2 shown]
	v_mul_f32_e32 v165, 0x3ee437d1, v47
	v_add_f32_e32 v54, v54, v176
	v_add_f32_e32 v87, v87, v1
	;; [unrolled: 1-line block ×4, first 2 shown]
	v_mul_f32_e32 v172, 0x3dbcf732, v50
	v_add_f32_e32 v24, v62, v165
	v_add_f32_e32 v54, v54, v87
	;; [unrolled: 1-line block ×4, first 2 shown]
	v_mul_f32_e32 v166, 0xbf1a4643, v45
	v_mul_f32_e32 v150, 0xbe8c1d8e, v57
	v_add_f32_e32 v24, v24, v54
	v_add_f32_e32 v26, v63, v172
	v_add_f32_e32 v3, v19, v3
	v_add_f32_e32 v2, v18, v2
	v_mul_f32_e32 v182, 0xbf1a4643, v59
	v_add_f32_e32 v128, v128, v166
	v_add_f32_e32 v127, v127, v1
	;; [unrolled: 1-line block ×7, first 2 shown]
	v_mul_f32_e32 v128, 0xbf59a7d5, v74
	v_add_f32_e32 v17, v24, v17
	v_add_f32_e32 v19, v77, v182
	;; [unrolled: 1-line block ×4, first 2 shown]
	v_mul_f32_e32 v181, 0x3f6eb680, v42
	v_mul_f32_e32 v146, 0xbf7ba420, v79
	v_add_f32_e32 v17, v19, v17
	v_add_f32_e32 v19, v81, v128
	;; [unrolled: 1-line block ×4, first 2 shown]
	v_mul_f32_e32 v168, 0x3f3d2fb0, v44
	v_sub_f32_e32 v52, v181, v52
	v_add_f32_e32 v17, v19, v17
	v_add_f32_e32 v19, v83, v146
	;; [unrolled: 1-line block ×4, first 2 shown]
	v_mul_f32_e32 v163, 0x3ee437d1, v46
	v_add_f32_e32 v52, v52, v0
	v_sub_f32_e32 v49, v168, v49
	v_add_f32_e32 v3, v19, v17
	v_add_f32_e32 v13, v13, v20
	;; [unrolled: 1-line block ×3, first 2 shown]
	v_fma_f32 v17, 0xbf1a4643, v43, -v177
	v_fmac_f32_e32 v174, 0xbf1a4643, v42
	v_mul_f32_e32 v159, 0xbf7ba420, v47
	v_mul_f32_e32 v164, 0x3dbcf732, v48
	;; [unrolled: 1-line block ×3, first 2 shown]
	v_add_f32_e32 v25, v49, v52
	v_sub_f32_e32 v49, v163, v53
	v_add_f32_e32 v13, v15, v13
	v_add_f32_e32 v12, v14, v12
	;; [unrolled: 1-line block ×3, first 2 shown]
	v_fma_f32 v14, 0xbe8c1d8e, v45, -v98
	v_add_f32_e32 v0, v174, v0
	v_fmac_f32_e32 v171, 0xbe8c1d8e, v44
	v_mul_f32_e32 v155, 0xbe8c1d8e, v50
	v_add_f32_e32 v126, v126, v159
	v_mul_f32_e32 v154, 0xbe8c1d8e, v51
	v_add_f32_e32 v145, v148, v145
	v_add_f32_e32 v25, v49, v25
	v_sub_f32_e32 v16, v164, v58
	v_add_f32_e32 v9, v9, v13
	v_add_f32_e32 v8, v8, v12
	;; [unrolled: 1-line block ×3, first 2 shown]
	v_fma_f32 v12, 0x3f6eb680, v47, -v178
	v_add_f32_e32 v0, v171, v0
	v_fmac_f32_e32 v94, 0x3f6eb680, v46
	v_mul_f32_e32 v148, 0x3f3d2fb0, v57
	v_add_f32_e32 v126, v126, v127
	v_add_f32_e32 v125, v125, v155
	;; [unrolled: 1-line block ×3, first 2 shown]
	v_mul_f32_e32 v145, 0xbf1a4643, v56
	v_add_f32_e32 v16, v16, v25
	v_sub_f32_e32 v18, v154, v72
	v_add_f32_e32 v9, v11, v9
	v_add_f32_e32 v8, v10, v8
	;; [unrolled: 1-line block ×3, first 2 shown]
	v_fma_f32 v10, 0xbf59a7d5, v50, -v184
	v_add_f32_e32 v0, v94, v0
	v_fmac_f32_e32 v100, 0xbf59a7d5, v48
	v_mul_f32_e32 v166, 0x3f6eb680, v59
	v_add_f32_e32 v125, v125, v126
	v_add_f32_e32 v124, v124, v148
	v_mul_f32_e32 v141, 0xbf59a7d5, v56
	v_mul_f32_e32 v160, 0xbf59a7d5, v73
	v_add_f32_e32 v16, v18, v16
	v_sub_f32_e32 v18, v145, v75
	v_add_f32_e32 v5, v5, v9
	v_add_f32_e32 v4, v4, v8
	;; [unrolled: 1-line block ×3, first 2 shown]
	v_fma_f32 v8, 0x3dbcf732, v57, -v118
	v_add_f32_e32 v0, v100, v0
	v_fmac_f32_e32 v188, 0x3dbcf732, v51
	v_mul_f32_e32 v159, 0x3ee437d1, v73
	v_mul_f32_e32 v127, 0x3dbcf732, v74
	;; [unrolled: 1-line block ×3, first 2 shown]
	v_add_f32_e32 v124, v124, v125
	v_add_f32_e32 v131, v131, v166
	v_mul_f32_e32 v155, 0xbf1a4643, v73
	v_sub_f32_e32 v138, v141, v138
	v_mul_f32_e32 v136, 0xbf7ba420, v78
	v_add_f32_e32 v16, v18, v16
	v_sub_f32_e32 v18, v160, v80
	v_add_f32_e32 v5, v7, v5
	v_add_f32_e32 v4, v6, v4
	;; [unrolled: 1-line block ×3, first 2 shown]
	v_fma_f32 v7, 0x3f3d2fb0, v59, -v117
	v_add_f32_e32 v8, v188, v0
	v_fmac_f32_e32 v170, 0x3f3d2fb0, v56
	v_mul_f32_e32 v126, 0x3f6eb680, v78
	v_mul_f32_e32 v141, 0xbf59a7d5, v79
	v_add_f32_e32 v124, v131, v124
	v_add_f32_e32 v127, v133, v127
	;; [unrolled: 1-line block ×3, first 2 shown]
	v_sub_f32_e32 v92, v159, v99
	v_mul_f32_e32 v125, 0x3f3d2fb0, v78
	v_add_f32_e32 v138, v138, v84
	v_sub_f32_e32 v140, v155, v140
	v_add_f32_e32 v16, v18, v16
	v_sub_f32_e32 v18, v136, v82
	v_add_f32_e32 v1, v33, v5
	v_add_f32_e32 v0, v32, v4
	;; [unrolled: 1-line block ×3, first 2 shown]
	v_fma_f32 v5, 0xbf7ba420, v74, -v120
	v_add_f32_e32 v6, v170, v8
	v_fmac_f32_e32 v119, 0xbf7ba420, v73
	v_mul_lo_u16 v7, v123, 17
	v_mov_b32_e32 v8, 3
	v_add_f32_e32 v124, v127, v124
	v_add_f32_e32 v127, v132, v141
	;; [unrolled: 1-line block ×4, first 2 shown]
	v_sub_f32_e32 v89, v126, v101
	v_add_f32_e32 v131, v140, v138
	v_sub_f32_e32 v125, v125, v139
	v_add_f32_e32 v2, v18, v16
	v_add_f32_e32 v4, v5, v4
	v_fma_f32 v5, 0x3ee437d1, v79, -v130
	v_add_f32_e32 v6, v119, v6
	v_fmac_f32_e32 v129, 0x3ee437d1, v78
	v_lshlrev_b32_sdwa v7, v8, v7 dst_sel:DWORD dst_unused:UNUSED_PAD src0_sel:DWORD src1_sel:WORD_0
	v_add_f32_e32 v86, v127, v124
	v_add_f32_e32 v54, v89, v88
	;; [unrolled: 1-line block ×8, first 2 shown]
	ds_write2_b64 v7, v[0:1], v[2:3] offset1:1
	ds_write2_b64 v7, v[54:55], v[85:86] offset0:2 offset1:3
	ds_write2_b64 v7, v[83:84], v[114:115] offset0:4 offset1:5
	;; [unrolled: 1-line block ×7, first 2 shown]
	ds_write_b64 v7, v[60:61] offset:128
.LBB0_7:
	s_or_b32 exec_lo, exec_lo, s4
	v_add_co_u32 v0, null, 0xaa, v123
	v_mov_b32_e32 v5, 0xf0f1
	v_and_b32_e32 v6, 0xff, v123
	v_add_co_u32 v14, null, 0x154, v123
	s_load_dwordx4 s[4:7], s[0:1], 0x0
	v_mul_u32_u24_sdwa v7, v0, v5 dst_sel:DWORD dst_unused:UNUSED_PAD src0_sel:WORD_0 src1_sel:DWORD
	v_mul_lo_u16 v1, 0xf1, v6
	v_mul_u32_u24_sdwa v8, v14, v5 dst_sel:DWORD dst_unused:UNUSED_PAD src0_sel:WORD_0 src1_sel:DWORD
	s_waitcnt lgkmcnt(0)
	s_barrier
	v_lshrrev_b32_e32 v15, 20, v7
	v_lshrrev_b16 v40, 12, v1
	v_lshrrev_b32_e32 v41, 20, v8
	buffer_gl0_inv
	v_mov_b32_e32 v48, 3
	v_mul_lo_u16 v1, v15, 17
	v_mul_lo_u16 v2, v40, 17
	v_add_co_u32 v45, null, 0x1fe, v123
	v_lshlrev_b32_sdwa v124, v48, v123 dst_sel:DWORD dst_unused:UNUSED_PAD src0_sel:DWORD src1_sel:WORD_0
	v_sub_nc_u16 v42, v0, v1
	v_sub_nc_u16 v1, v123, v2
	v_mul_lo_u16 v2, v41, 17
	v_mul_lo_u16 v6, 0x79, v6
	v_add_nc_u32_e32 v52, 0x800, v124
	v_mul_lo_u16 v3, v42, 24
	v_and_b32_e32 v43, 0xff, v1
	v_sub_nc_u16 v44, v14, v2
	v_add_nc_u32_e32 v47, 0x2800, v124
	v_add_nc_u32_e32 v49, 0x1400, v124
	v_and_b32_e32 v3, 0xffff, v3
	v_mad_u64_u32 v[1:2], null, v43, 24, s[2:3]
	v_mul_lo_u16 v9, v44, 24
	v_lshrrev_b16 v51, 13, v6
	v_add_co_u32 v3, s0, s2, v3
	v_add_co_ci_u32_e64 v4, null, s3, 0, s0
	v_and_b32_e32 v9, 0xffff, v9
	s_clause 0x2
	global_load_dwordx4 v[24:27], v[1:2], off
	global_load_dwordx2 v[115:116], v[1:2], off offset:16
	global_load_dwordx4 v[20:23], v[3:4], off
	v_lshrrev_b32_e32 v53, 22, v7
	v_lshrrev_b32_e32 v54, 22, v8
	v_add_nc_u32_e32 v50, 0x3400, v124
	v_add_co_u32 v1, s0, s2, v9
	v_add_co_ci_u32_e64 v2, null, s3, 0, s0
	s_clause 0x2
	global_load_dwordx2 v[113:114], v[3:4], off offset:16
	global_load_dwordx4 v[16:19], v[1:2], off
	global_load_dwordx2 v[111:112], v[1:2], off offset:16
	v_mul_u32_u24_sdwa v9, v45, v5 dst_sel:DWORD dst_unused:UNUSED_PAD src0_sel:WORD_0 src1_sel:DWORD
	v_add_nc_u32_e32 v1, 0x1e00, v124
	ds_read2_b64 v[2:5], v124 offset1:170
	v_mov_b32_e32 v46, 0x44
	v_mul_lo_u16 v56, 0x44, v51
	v_lshrrev_b32_e32 v55, 22, v9
	ds_read2_b64 v[6:9], v52 offset0:84 offset1:254
	ds_read2_b64 v[10:13], v1 offset0:60 offset1:230
	;; [unrolled: 1-line block ×5, first 2 shown]
	v_mul_lo_u16 v57, 0x44, v53
	v_mul_lo_u16 v58, 0x44, v54
	v_mul_u32_u24_sdwa v40, v40, v46 dst_sel:DWORD dst_unused:UNUSED_PAD src0_sel:WORD_0 src1_sel:DWORD
	v_sub_nc_u16 v46, v123, v56
	v_mul_lo_u16 v59, 0x44, v55
	v_sub_nc_u16 v56, v0, v57
	v_sub_nc_u16 v57, v14, v58
	v_mad_u16 v14, 0x44, v15, v42
	v_mad_u16 v15, 0x44, v41, v44
	v_sub_nc_u16 v45, v45, v59
	v_lshlrev_b16 v41, 4, v56
	v_lshlrev_b16 v42, 4, v57
	v_and_b32_e32 v58, 0xff, v46
	v_add_lshl_u32 v127, v40, v43, 3
	v_lshlrev_b32_sdwa v126, v48, v14 dst_sel:DWORD dst_unused:UNUSED_PAD src0_sel:DWORD src1_sel:WORD_0
	v_and_b32_e32 v14, 0xffff, v41
	v_and_b32_e32 v46, 0xffff, v42
	v_lshlrev_b16 v44, 4, v45
	v_lshlrev_b32_e32 v40, 4, v58
	v_lshlrev_b32_sdwa v125, v48, v15 dst_sel:DWORD dst_unused:UNUSED_PAD src0_sel:DWORD src1_sel:WORD_0
	v_add_co_u32 v14, s0, s2, v14
	v_and_b32_e32 v44, 0xffff, v44
	v_add_co_ci_u32_e64 v15, null, s3, 0, s0
	s_waitcnt vmcnt(0) lgkmcnt(0)
	s_barrier
	buffer_gl0_inv
	v_add_nc_u32_e32 v133, 0xc00, v124
	v_add_nc_u32_e32 v134, 0x1800, v124
	;; [unrolled: 1-line block ×4, first 2 shown]
	v_mul_f32_e32 v41, v9, v25
	v_mul_f32_e32 v42, v8, v25
	;; [unrolled: 1-line block ×18, first 2 shown]
	v_fma_f32 v8, v8, v24, -v41
	v_fmac_f32_e32 v42, v9, v24
	v_fma_f32 v9, v10, v26, -v43
	v_fmac_f32_e32 v59, v11, v26
	;; [unrolled: 2-line block ×9, first 2 shown]
	v_sub_f32_e32 v31, v2, v9
	v_sub_f32_e32 v32, v3, v59
	;; [unrolled: 1-line block ×12, first 2 shown]
	v_fma_f32 v37, v2, 2.0, -v31
	v_fma_f32 v38, v3, 2.0, -v32
	;; [unrolled: 1-line block ×8, first 2 shown]
	v_sub_f32_e32 v2, v31, v10
	v_fma_f32 v62, v6, 2.0, -v35
	v_fma_f32 v63, v7, 2.0, -v36
	;; [unrolled: 1-line block ×4, first 2 shown]
	v_add_f32_e32 v3, v32, v9
	v_add_f32_e32 v5, v34, v12
	v_sub_f32_e32 v6, v35, v29
	v_sub_f32_e32 v8, v37, v8
	;; [unrolled: 1-line block ×4, first 2 shown]
	v_add_f32_e32 v7, v36, v28
	v_sub_f32_e32 v12, v41, v43
	v_sub_f32_e32 v13, v42, v59
	v_fma_f32 v10, v31, 2.0, -v2
	v_sub_f32_e32 v30, v62, v30
	v_sub_f32_e32 v31, v63, v72
	v_fma_f32 v11, v32, 2.0, -v3
	v_fma_f32 v29, v34, 2.0, -v5
	;; [unrolled: 1-line block ×11, first 2 shown]
	ds_write2_b64 v127, v[8:9], v[2:3] offset0:34 offset1:51
	ds_write2_b64 v127, v[34:35], v[10:11] offset1:17
	ds_write2_b64 v126, v[12:13], v[4:5] offset0:34 offset1:51
	ds_write2_b64 v126, v[36:37], v[28:29] offset1:17
	ds_write2_b64 v125, v[38:39], v[32:33] offset1:17
	ds_write2_b64 v125, v[30:31], v[6:7] offset0:34 offset1:51
	v_add_co_u32 v2, s0, s2, v46
	v_add_co_ci_u32_e64 v3, null, s3, 0, s0
	v_add_co_u32 v4, s0, s2, v44
	s_waitcnt lgkmcnt(0)
	s_barrier
	buffer_gl0_inv
	s_clause 0x1
	global_load_dwordx4 v[40:43], v40, s[2:3] offset:408
	global_load_dwordx4 v[36:39], v[14:15], off offset:408
	v_add_co_ci_u32_e64 v5, null, s3, 0, s0
	s_clause 0x1
	global_load_dwordx4 v[32:35], v[2:3], off offset:408
	global_load_dwordx4 v[28:31], v[4:5], off offset:408
	v_mov_b32_e32 v10, 0xcc
	ds_read2_b64 v[2:5], v49 offset0:40 offset1:210
	ds_read2_b64 v[6:9], v47 offset0:80 offset1:250
	v_mad_u16 v15, 0xcc, v53, v56
	v_mad_u16 v49, 0xcc, v54, v57
	v_mul_u32_u24_sdwa v14, v51, v10 dst_sel:DWORD dst_unused:UNUSED_PAD src0_sel:WORD_0 src1_sel:DWORD
	ds_read2_b64 v[10:13], v1 offset0:60 offset1:230
	v_mad_u16 v51, 0xcc, v55, v45
	ds_read2_b64 v[44:47], v50 offset0:36 offset1:206
	v_lshlrev_b32_sdwa v130, v48, v15 dst_sel:DWORD dst_unused:UNUSED_PAD src0_sel:DWORD src1_sel:WORD_0
	v_lshlrev_b32_sdwa v129, v48, v49 dst_sel:DWORD dst_unused:UNUSED_PAD src0_sel:DWORD src1_sel:WORD_0
	v_add_lshl_u32 v131, v14, v58, 3
	v_lshlrev_b32_sdwa v128, v48, v51 dst_sel:DWORD dst_unused:UNUSED_PAD src0_sel:DWORD src1_sel:WORD_0
	ds_read2_b64 v[48:51], v124 offset1:170
	ds_read2_b64 v[72:75], v52 offset0:84 offset1:254
	s_waitcnt vmcnt(0) lgkmcnt(0)
	s_barrier
	buffer_gl0_inv
	v_cmp_gt_u16_e64 s0, 34, v123
	v_mul_f32_e32 v14, v3, v41
	v_mul_f32_e32 v15, v2, v41
	;; [unrolled: 1-line block ×16, first 2 shown]
	v_fma_f32 v2, v2, v40, -v14
	v_fmac_f32_e32 v15, v3, v40
	v_fma_f32 v3, v6, v42, -v52
	v_fmac_f32_e32 v53, v7, v42
	;; [unrolled: 2-line block ×8, first 2 shown]
	v_add_f32_e32 v10, v2, v3
	v_add_f32_e32 v13, v15, v53
	v_sub_f32_e32 v44, v15, v53
	v_add_f32_e32 v11, v49, v15
	v_add_f32_e32 v15, v4, v6
	;; [unrolled: 1-line block ×5, first 2 shown]
	v_sub_f32_e32 v58, v59, v63
	v_add_f32_e32 v62, v73, v59
	v_add_f32_e32 v59, v59, v63
	v_sub_f32_e32 v45, v2, v3
	v_add_f32_e32 v14, v50, v4
	v_sub_f32_e32 v46, v55, v57
	;; [unrolled: 2-line block ×5, first 2 shown]
	v_add_f32_e32 v82, v75, v77
	v_add_f32_e32 v77, v77, v79
	v_fma_f32 v4, -0.5, v10, v48
	v_fma_f32 v5, -0.5, v13, v49
	;; [unrolled: 1-line block ×3, first 2 shown]
	v_fmac_f32_e32 v51, -0.5, v52
	v_add_f32_e32 v2, v9, v3
	v_add_f32_e32 v3, v11, v53
	v_fma_f32 v10, -0.5, v56, v72
	v_fma_f32 v11, -0.5, v59, v73
	v_add_f32_e32 v78, v74, v7
	v_sub_f32_e32 v83, v7, v12
	v_add_f32_e32 v6, v14, v6
	v_fma_f32 v74, -0.5, v80, v74
	v_fmac_f32_e32 v75, -0.5, v77
	v_fmamk_f32 v14, v44, 0x3f5db3d7, v4
	v_fmamk_f32 v15, v45, 0xbf5db3d7, v5
	v_fmac_f32_e32 v4, 0xbf5db3d7, v44
	v_fmac_f32_e32 v5, 0x3f5db3d7, v45
	v_add_f32_e32 v7, v47, v57
	v_fmamk_f32 v44, v46, 0x3f5db3d7, v50
	v_fmamk_f32 v45, v54, 0xbf5db3d7, v51
	v_fmac_f32_e32 v50, 0xbf5db3d7, v46
	v_fmac_f32_e32 v51, 0x3f5db3d7, v54
	v_add_f32_e32 v8, v55, v8
	v_add_f32_e32 v9, v62, v63
	v_fmamk_f32 v46, v58, 0x3f5db3d7, v10
	v_fmamk_f32 v47, v76, 0xbf5db3d7, v11
	v_add_f32_e32 v12, v78, v12
	v_add_f32_e32 v13, v82, v79
	v_fmac_f32_e32 v10, 0xbf5db3d7, v58
	v_fmac_f32_e32 v11, 0x3f5db3d7, v76
	v_fmamk_f32 v72, v81, 0x3f5db3d7, v74
	v_fmac_f32_e32 v74, 0xbf5db3d7, v81
	v_fmamk_f32 v73, v83, 0xbf5db3d7, v75
	v_fmac_f32_e32 v75, 0x3f5db3d7, v83
	ds_write2_b64 v131, v[2:3], v[14:15] offset1:68
	ds_write_b64 v131, v[4:5] offset:1088
	ds_write2_b64 v130, v[6:7], v[44:45] offset1:68
	ds_write_b64 v130, v[50:51] offset:1088
	ds_write2_b64 v129, v[8:9], v[46:47] offset1:68
	ds_write_b64 v129, v[10:11] offset:1088
	ds_write2_b64 v128, v[12:13], v[72:73] offset1:68
	ds_write_b64 v128, v[74:75] offset:1088
	s_waitcnt lgkmcnt(0)
	s_barrier
	buffer_gl0_inv
	ds_read2_b64 v[76:79], v124 offset1:204
	ds_read2_b64 v[96:99], v133 offset0:24 offset1:228
	ds_read2_b64 v[92:95], v134 offset0:48 offset1:252
	;; [unrolled: 1-line block ×4, first 2 shown]
                                        ; implicit-def: $vgpr80
	s_and_saveexec_b32 s1, s0
	s_cbranch_execz .LBB0_9
; %bb.8:
	v_add_nc_u32_e32 v2, 0x400, v124
	v_add_nc_u32_e32 v3, 0x1200, v124
	;; [unrolled: 1-line block ×4, first 2 shown]
	ds_read2_b64 v[72:75], v2 offset0:42 offset1:246
	ds_read2_b64 v[68:71], v3 offset0:2 offset1:206
	;; [unrolled: 1-line block ×5, first 2 shown]
.LBB0_9:
	s_or_b32 exec_lo, exec_lo, s1
	v_mad_u64_u32 v[1:2], null, 0x48, v123, s[2:3]
	s_clause 0x4
	global_load_dwordx4 v[56:59], v[1:2], off offset:1496
	global_load_dwordx4 v[52:55], v[1:2], off offset:1512
	;; [unrolled: 1-line block ×4, first 2 shown]
	global_load_dwordx2 v[117:118], v[1:2], off offset:1560
	v_subrev_nc_u32_e32 v1, 34, v123
	v_cndmask_b32_e64 v0, v1, v0, s0
	v_mul_i32_i24_e32 v1, 0x48, v0
	v_mul_hi_i32_i24_e32 v0, 0x48, v0
	v_add_co_u32 v100, s1, s2, v1
	v_add_co_ci_u32_e64 v101, s1, s3, v0, s1
	s_clause 0x4
	global_load_dwordx4 v[4:7], v[100:101], off offset:1496
	global_load_dwordx4 v[0:3], v[100:101], off offset:1512
	;; [unrolled: 1-line block ×4, first 2 shown]
	global_load_dwordx2 v[109:110], v[100:101], off offset:1560
	s_waitcnt vmcnt(9) lgkmcnt(4)
	v_mul_f32_e32 v101, v79, v57
	v_mul_f32_e32 v100, v78, v57
	s_waitcnt lgkmcnt(3)
	v_mul_f32_e32 v102, v97, v59
	v_mul_f32_e32 v103, v96, v59
	s_waitcnt vmcnt(8)
	v_mul_f32_e32 v104, v99, v53
	v_mul_f32_e32 v105, v98, v53
	s_waitcnt lgkmcnt(2)
	v_mul_f32_e32 v106, v93, v55
	v_mul_f32_e32 v107, v92, v55
	s_waitcnt vmcnt(7)
	;; [unrolled: 6-line block ×4, first 2 shown]
	v_mul_f32_e32 v142, v87, v118
	v_mul_f32_e32 v143, v86, v118
	v_fma_f32 v78, v78, v56, -v101
	v_fmac_f32_e32 v100, v79, v56
	v_fma_f32 v79, v96, v58, -v102
	v_fmac_f32_e32 v103, v97, v58
	v_fma_f32 v96, v98, v52, -v104
	v_fmac_f32_e32 v105, v99, v52
	v_fma_f32 v92, v92, v54, -v106
	v_fmac_f32_e32 v107, v93, v54
	v_fma_f32 v93, v94, v48, -v119
	v_fmac_f32_e32 v120, v95, v48
	v_fma_f32 v88, v88, v50, -v136
	v_fmac_f32_e32 v137, v89, v50
	v_fma_f32 v89, v90, v44, -v138
	v_fmac_f32_e32 v139, v91, v44
	v_fma_f32 v84, v84, v46, -v140
	v_fmac_f32_e32 v141, v85, v46
	v_fma_f32 v85, v86, v117, -v142
	v_fmac_f32_e32 v143, v87, v117
	v_add_f32_e32 v86, v76, v79
	v_add_f32_e32 v87, v92, v88
	v_sub_f32_e32 v90, v103, v141
	v_sub_f32_e32 v94, v79, v92
	;; [unrolled: 1-line block ×3, first 2 shown]
	v_add_f32_e32 v97, v79, v84
	v_sub_f32_e32 v98, v92, v79
	v_sub_f32_e32 v99, v88, v84
	v_add_f32_e32 v101, v77, v103
	v_add_f32_e32 v102, v107, v137
	v_sub_f32_e32 v106, v103, v107
	v_sub_f32_e32 v119, v141, v137
	v_add_f32_e32 v136, v103, v141
	v_sub_f32_e32 v103, v107, v103
	v_sub_f32_e32 v138, v137, v141
	v_add_f32_e32 v140, v78, v96
	v_add_f32_e32 v142, v93, v89
	;; [unrolled: 1-line block ×6, first 2 shown]
	s_waitcnt vmcnt(4)
	v_mul_f32_e32 v158, v75, v5
	v_mul_f32_e32 v159, v74, v5
	v_mul_f32_e32 v160, v69, v7
	v_mul_f32_e32 v161, v68, v7
	s_waitcnt vmcnt(3)
	v_mul_f32_e32 v162, v71, v1
	v_mul_f32_e32 v163, v70, v1
	v_mul_f32_e32 v164, v65, v3
	v_mul_f32_e32 v165, v64, v3
	;; [unrolled: 5-line block ×3, first 2 shown]
	s_waitcnt vmcnt(1)
	v_mul_f32_e32 v170, v63, v9
	v_mul_f32_e32 v171, v62, v9
	v_mul_f32_e32 v172, v81, v11
	s_waitcnt vmcnt(0)
	v_mul_f32_e32 v174, v83, v110
	v_mul_f32_e32 v175, v82, v110
	v_sub_f32_e32 v91, v107, v137
	v_sub_f32_e32 v104, v92, v88
	;; [unrolled: 1-line block ×10, first 2 shown]
	v_mul_f32_e32 v173, v80, v11
	v_add_f32_e32 v86, v86, v92
	v_fma_f32 v92, -0.5, v87, v76
	v_add_f32_e32 v87, v94, v95
	v_fma_f32 v76, -0.5, v97, v76
	v_add_f32_e32 v94, v98, v99
	v_add_f32_e32 v95, v101, v107
	v_fma_f32 v176, -0.5, v102, v77
	v_add_f32_e32 v97, v106, v119
	v_fma_f32 v77, -0.5, v136, v77
	v_add_f32_e32 v98, v103, v138
	v_add_f32_e32 v93, v140, v93
	v_fma_f32 v99, -0.5, v142, v78
	v_fmac_f32_e32 v78, -0.5, v148
	v_add_f32_e32 v103, v151, v120
	v_fma_f32 v106, -0.5, v152, v100
	v_fmac_f32_e32 v100, -0.5, v156
	v_fma_f32 v74, v74, v4, -v158
	v_fmac_f32_e32 v159, v75, v4
	v_fma_f32 v68, v68, v6, -v160
	v_fmac_f32_e32 v161, v69, v6
	v_fma_f32 v69, v70, v0, -v162
	v_fmac_f32_e32 v163, v71, v0
	v_fma_f32 v64, v64, v2, -v164
	v_fmac_f32_e32 v165, v65, v2
	v_fma_f32 v65, v66, v12, -v166
	v_fmac_f32_e32 v167, v67, v12
	v_fma_f32 v60, v60, v14, -v168
	v_fmac_f32_e32 v169, v61, v14
	v_fma_f32 v61, v62, v8, -v170
	v_fmac_f32_e32 v171, v63, v8
	v_fma_f32 v62, v80, v10, -v172
	v_fma_f32 v63, v82, v109, -v174
	v_fmac_f32_e32 v175, v83, v109
	v_sub_f32_e32 v79, v79, v84
	v_sub_f32_e32 v147, v85, v89
	;; [unrolled: 1-line block ×5, first 2 shown]
	v_add_f32_e32 v107, v154, v155
	v_fmac_f32_e32 v173, v81, v10
	v_add_f32_e32 v66, v86, v88
	v_fmamk_f32 v67, v90, 0x3f737871, v92
	v_fmac_f32_e32 v92, 0xbf737871, v90
	v_fmamk_f32 v70, v91, 0xbf737871, v76
	v_fmac_f32_e32 v76, 0x3f737871, v91
	v_add_f32_e32 v71, v95, v137
	v_fmamk_f32 v95, v104, 0x3f737871, v77
	v_fmac_f32_e32 v77, 0xbf737871, v104
	v_add_f32_e32 v80, v93, v89
	v_fmamk_f32 v82, v144, 0x3f737871, v99
	v_fmac_f32_e32 v99, 0xbf737871, v144
	v_fmamk_f32 v83, v145, 0xbf737871, v78
	v_fmac_f32_e32 v78, 0x3f737871, v145
	v_add_f32_e32 v81, v103, v139
	v_fmamk_f32 v88, v96, 0xbf737871, v106
	v_fmamk_f32 v89, v153, 0x3f737871, v100
	v_sub_f32_e32 v120, v68, v64
	v_sub_f32_e32 v136, v62, v60
	;; [unrolled: 1-line block ×4, first 2 shown]
	v_add_f32_e32 v140, v73, v161
	v_add_f32_e32 v152, v74, v69
	;; [unrolled: 1-line block ×10, first 2 shown]
	v_fmamk_f32 v75, v79, 0xbf737871, v176
	v_fmac_f32_e32 v176, 0x3f737871, v79
	v_fmac_f32_e32 v106, 0x3f737871, v96
	;; [unrolled: 1-line block ×3, first 2 shown]
	v_add_f32_e32 v86, v72, v68
	v_sub_f32_e32 v103, v161, v173
	v_add_f32_e32 v142, v165, v169
	v_sub_f32_e32 v147, v161, v165
	;; [unrolled: 2-line block ×3, first 2 shown]
	v_sub_f32_e32 v155, v163, v175
	v_sub_f32_e32 v156, v167, v171
	v_sub_f32_e32 v157, v69, v65
	v_sub_f32_e32 v161, v65, v69
	v_sub_f32_e32 v69, v69, v63
	v_sub_f32_e32 v168, v65, v61
	v_add_f32_e32 v66, v66, v84
	v_fmac_f32_e32 v67, 0x3f167918, v91
	v_fmac_f32_e32 v92, 0xbf167918, v91
	;; [unrolled: 1-line block ×4, first 2 shown]
	v_add_f32_e32 v71, v71, v141
	v_fmac_f32_e32 v95, 0xbf167918, v79
	v_fmac_f32_e32 v77, 0x3f167918, v79
	v_add_f32_e32 v79, v80, v85
	v_fmac_f32_e32 v99, 0xbf167918, v145
	v_fmac_f32_e32 v78, 0xbf167918, v144
	;; [unrolled: 3-line block ×3, first 2 shown]
	v_add_f32_e32 v85, v120, v136
	v_add_f32_e32 v90, v138, v139
	;; [unrolled: 1-line block ×4, first 2 shown]
	v_fma_f32 v120, -0.5, v154, v74
	v_fmac_f32_e32 v74, -0.5, v160
	v_add_f32_e32 v138, v164, v167
	v_fma_f32 v139, -0.5, v166, v159
	v_fmac_f32_e32 v159, -0.5, v174
	v_add_f32_e32 v93, v64, v60
	v_add_f32_e32 v137, v68, v62
	v_sub_f32_e32 v146, v64, v60
	v_sub_f32_e32 v158, v63, v61
	;; [unrolled: 1-line block ×7, first 2 shown]
	v_fmac_f32_e32 v75, 0xbf167918, v104
	v_fmac_f32_e32 v176, 0x3f167918, v104
	;; [unrolled: 1-line block ×6, first 2 shown]
	v_add_f32_e32 v64, v86, v64
	v_fma_f32 v136, -0.5, v142, v73
	v_fmac_f32_e32 v73, -0.5, v149
	v_fmac_f32_e32 v67, 0x3e9e377a, v87
	v_fmac_f32_e32 v92, 0x3e9e377a, v87
	;; [unrolled: 1-line block ×8, first 2 shown]
	v_add_f32_e32 v80, v66, v79
	v_add_f32_e32 v81, v71, v84
	v_sub_f32_e32 v86, v66, v79
	v_sub_f32_e32 v87, v71, v84
	v_add_f32_e32 v71, v91, v169
	v_add_f32_e32 v61, v65, v61
	v_fmamk_f32 v65, v155, 0x3f737871, v120
	v_fmac_f32_e32 v120, 0xbf737871, v155
	v_fmamk_f32 v91, v156, 0xbf737871, v74
	v_fmac_f32_e32 v74, 0x3f737871, v156
	v_add_f32_e32 v79, v138, v171
	v_fmamk_f32 v94, v69, 0xbf737871, v139
	v_fmac_f32_e32 v139, 0x3f737871, v69
	v_fmamk_f32 v138, v168, 0x3f737871, v159
	v_fmac_f32_e32 v159, 0xbf737871, v168
	v_sub_f32_e32 v119, v165, v169
	v_sub_f32_e32 v68, v68, v62
	;; [unrolled: 1-line block ×3, first 2 shown]
	v_fma_f32 v141, -0.5, v93, v72
	v_fmac_f32_e32 v72, -0.5, v137
	v_add_f32_e32 v104, v157, v158
	v_add_f32_e32 v137, v161, v162
	;; [unrolled: 1-line block ×4, first 2 shown]
	v_fmac_f32_e32 v75, 0x3e9e377a, v97
	v_fmac_f32_e32 v176, 0x3e9e377a, v97
	v_fmac_f32_e32 v82, 0x3e9e377a, v101
	v_fmac_f32_e32 v83, 0x3e9e377a, v102
	v_fmac_f32_e32 v106, 0x3e9e377a, v107
	v_fmac_f32_e32 v100, 0x3e9e377a, v105
	v_add_f32_e32 v60, v64, v60
	v_fmamk_f32 v144, v146, 0x3f737871, v73
	v_fmac_f32_e32 v73, 0xbf737871, v146
	v_mul_f32_e32 v101, 0x3f167918, v88
	v_mul_f32_e32 v102, 0x3f737871, v89
	;; [unrolled: 1-line block ×4, first 2 shown]
	v_fmac_f32_e32 v65, 0x3f167918, v156
	v_fmac_f32_e32 v120, 0xbf167918, v156
	;; [unrolled: 1-line block ×8, first 2 shown]
	v_sub_f32_e32 v148, v173, v169
	v_add_f32_e32 v96, v150, v151
	v_fmac_f32_e32 v95, 0x3e9e377a, v98
	v_fmac_f32_e32 v77, 0x3e9e377a, v98
	v_fmamk_f32 v64, v103, 0x3f737871, v141
	v_fmac_f32_e32 v141, 0xbf737871, v103
	v_fmamk_f32 v66, v119, 0xbf737871, v72
	;; [unrolled: 2-line block ×3, first 2 shown]
	v_fmac_f32_e32 v136, 0x3f737871, v68
	v_mul_f32_e32 v105, 0xbf167918, v82
	v_mul_f32_e32 v107, 0xbf737871, v83
	;; [unrolled: 1-line block ×3, first 2 shown]
	v_add_f32_e32 v60, v60, v62
	v_add_f32_e32 v62, v71, v173
	v_fmac_f32_e32 v144, 0xbf167918, v68
	v_fmac_f32_e32 v73, 0x3f167918, v68
	v_add_f32_e32 v61, v61, v63
	v_add_f32_e32 v63, v79, v175
	v_fmac_f32_e32 v101, 0x3f4f1bbd, v82
	v_fmac_f32_e32 v102, 0x3e9e377a, v83
	v_fma_f32 v68, 0x3f737871, v100, -v84
	v_fma_f32 v69, 0x3f167918, v106, -v97
	v_fmac_f32_e32 v65, 0x3e9e377a, v104
	v_fmac_f32_e32 v120, 0x3e9e377a, v104
	;; [unrolled: 1-line block ×8, first 2 shown]
	v_add_f32_e32 v93, v147, v148
	v_mul_f32_e32 v145, 0x3f4f1bbd, v106
	v_fmac_f32_e32 v64, 0x3f167918, v119
	v_fmac_f32_e32 v141, 0xbf167918, v119
	;; [unrolled: 1-line block ×8, first 2 shown]
	v_fma_f32 v71, 0xbf737871, v78, -v98
	v_fmac_f32_e32 v144, 0x3e9e377a, v96
	v_fmac_f32_e32 v73, 0x3e9e377a, v96
	v_add_f32_e32 v88, v60, v61
	v_add_f32_e32 v89, v62, v63
	v_sub_f32_e32 v78, v60, v61
	v_sub_f32_e32 v79, v62, v63
	v_add_f32_e32 v82, v67, v101
	v_add_f32_e32 v96, v70, v102
	;; [unrolled: 1-line block ×4, first 2 shown]
	v_sub_f32_e32 v104, v67, v101
	v_sub_f32_e32 v106, v70, v102
	;; [unrolled: 1-line block ×4, first 2 shown]
	v_mul_f32_e32 v60, 0x3f167918, v94
	v_mul_f32_e32 v61, 0x3f737871, v138
	;; [unrolled: 1-line block ×8, first 2 shown]
	v_fma_f32 v103, 0xbf167918, v99, -v145
	v_fmac_f32_e32 v64, 0x3e9e377a, v85
	v_fmac_f32_e32 v141, 0x3e9e377a, v85
	;; [unrolled: 1-line block ×8, first 2 shown]
	v_fma_f32 v62, 0x3f737871, v159, -v62
	v_fma_f32 v63, 0x3f167918, v139, -v63
	v_fmac_f32_e32 v67, 0x3f4f1bbd, v94
	v_fmac_f32_e32 v68, 0x3e9e377a, v138
	v_fma_f32 v65, 0xbf737871, v74, -v69
	v_fma_f32 v69, 0xbf167918, v120, -v70
	v_add_f32_e32 v83, v75, v105
	v_add_f32_e32 v97, v95, v107
	;; [unrolled: 1-line block ×4, first 2 shown]
	v_sub_f32_e32 v105, v75, v105
	v_sub_f32_e32 v107, v95, v107
	;; [unrolled: 1-line block ×4, first 2 shown]
	v_add_f32_e32 v90, v64, v60
	v_add_f32_e32 v92, v66, v61
	;; [unrolled: 1-line block ×8, first 2 shown]
	v_sub_f32_e32 v119, v64, v60
	v_sub_f32_e32 v66, v66, v61
	;; [unrolled: 1-line block ×8, first 2 shown]
	ds_write2_b64 v124, v[80:81], v[82:83] offset1:204
	ds_write2_b64 v133, v[96:97], v[98:99] offset0:24 offset1:228
	ds_write2_b64 v134, v[84:85], v[86:87] offset0:48 offset1:252
	;; [unrolled: 1-line block ×4, first 2 shown]
	s_and_saveexec_b32 s1, s0
	s_cbranch_execz .LBB0_11
; %bb.10:
	v_add_nc_u32_e32 v64, 0x400, v124
	v_add_nc_u32_e32 v65, 0x1200, v124
	;; [unrolled: 1-line block ×5, first 2 shown]
	ds_write2_b64 v64, v[88:89], v[90:91] offset0:42 offset1:246
	ds_write2_b64 v65, v[92:93], v[94:95] offset0:2 offset1:206
	;; [unrolled: 1-line block ×5, first 2 shown]
.LBB0_11:
	s_or_b32 exec_lo, exec_lo, s1
	s_waitcnt lgkmcnt(0)
	s_barrier
	buffer_gl0_inv
	s_and_saveexec_b32 s12, vcc_lo
	s_cbranch_execz .LBB0_13
; %bb.12:
	s_add_u32 s2, s8, 0x3fc0
	s_addc_u32 s3, s9, 0
	v_add_co_u32 v132, s1, s2, v122
	global_load_dwordx2 v[64:65], v122, s[2:3]
	v_add_co_ci_u32_e64 v133, null, s3, 0, s1
	v_add_co_u32 v68, s1, 0x800, v132
	s_clause 0x1
	global_load_dwordx2 v[156:157], v122, s[2:3] offset:960
	global_load_dwordx2 v[158:159], v122, s[2:3] offset:1920
	v_add_co_ci_u32_e64 v69, s1, 0, v133, s1
	v_add_co_u32 v70, s1, 0x1000, v132
	v_add_co_ci_u32_e64 v71, s1, 0, v133, s1
	v_add_co_u32 v72, s1, 0x1800, v132
	;; [unrolled: 2-line block ×3, first 2 shown]
	v_add_co_ci_u32_e64 v75, s1, 0, v133, s1
	s_clause 0x1
	global_load_dwordx2 v[160:161], v[68:69], off offset:832
	global_load_dwordx2 v[162:163], v[68:69], off offset:1792
	v_add_co_u32 v68, s1, 0x2800, v132
	v_add_co_ci_u32_e64 v69, s1, 0, v133, s1
	s_clause 0x3
	global_load_dwordx2 v[164:165], v[70:71], off offset:704
	global_load_dwordx2 v[166:167], v[70:71], off offset:1664
	;; [unrolled: 1-line block ×4, first 2 shown]
	v_add_co_u32 v70, s1, 0x3000, v132
	v_add_co_ci_u32_e64 v71, s1, 0, v133, s1
	s_clause 0x3
	global_load_dwordx2 v[172:173], v[74:75], off offset:448
	global_load_dwordx2 v[174:175], v[74:75], off offset:1408
	;; [unrolled: 1-line block ×4, first 2 shown]
	v_add_co_u32 v68, s1, 0x3800, v132
	v_add_co_ci_u32_e64 v69, s1, 0, v133, s1
	v_or_b32_e32 v72, 0x3c00, v122
	s_clause 0x3
	global_load_dwordx2 v[180:181], v[70:71], off offset:192
	global_load_dwordx2 v[182:183], v[70:71], off offset:1152
	;; [unrolled: 1-line block ×3, first 2 shown]
	global_load_dwordx2 v[186:187], v72, s[2:3]
	ds_read_b64 v[68:69], v124
	v_add_nc_u32_e32 v188, 0x800, v122
	v_add_nc_u32_e32 v189, 0x1000, v122
	;; [unrolled: 1-line block ×7, first 2 shown]
	s_waitcnt vmcnt(16) lgkmcnt(0)
	v_mul_f32_e32 v70, v69, v65
	v_mul_f32_e32 v71, v68, v65
	v_fma_f32 v70, v68, v64, -v70
	v_fmac_f32_e32 v71, v69, v64
	ds_write_b64 v124, v[70:71]
	ds_read2_b64 v[68:71], v122 offset0:120 offset1:240
	ds_read2_b64 v[72:75], v188 offset0:104 offset1:224
	;; [unrolled: 1-line block ×8, first 2 shown]
	s_waitcnt vmcnt(15) lgkmcnt(7)
	v_mul_f32_e32 v64, v69, v157
	v_mul_f32_e32 v65, v68, v157
	s_waitcnt vmcnt(14)
	v_mul_f32_e32 v195, v71, v159
	v_mul_f32_e32 v157, v70, v159
	s_waitcnt vmcnt(13) lgkmcnt(6)
	v_mul_f32_e32 v196, v73, v161
	v_mul_f32_e32 v159, v72, v161
	s_waitcnt vmcnt(12)
	v_mul_f32_e32 v197, v75, v163
	v_mul_f32_e32 v161, v74, v163
	;; [unrolled: 6-line block ×8, first 2 shown]
	v_fma_f32 v64, v68, v156, -v64
	v_fmac_f32_e32 v65, v69, v156
	v_fma_f32 v156, v70, v158, -v195
	v_fmac_f32_e32 v157, v71, v158
	;; [unrolled: 2-line block ×16, first 2 shown]
	ds_write2_b64 v122, v[64:65], v[156:157] offset0:120 offset1:240
	ds_write2_b64 v188, v[158:159], v[160:161] offset0:104 offset1:224
	;; [unrolled: 1-line block ×8, first 2 shown]
.LBB0_13:
	s_or_b32 exec_lo, exec_lo, s12
	s_waitcnt lgkmcnt(0)
	s_barrier
	buffer_gl0_inv
	s_and_saveexec_b32 s1, vcc_lo
	s_cbranch_execz .LBB0_15
; %bb.14:
	v_add_nc_u32_e32 v64, 0x400, v124
	v_add_nc_u32_e32 v65, 0xc00, v124
	;; [unrolled: 1-line block ×3, first 2 shown]
	ds_read2_b64 v[80:83], v124 offset1:120
	v_add_nc_u32_e32 v69, 0x2c00, v124
	ds_read2_b64 v[96:99], v64 offset0:112 offset1:232
	ds_read2_b64 v[84:87], v65 offset0:96 offset1:216
	v_add_nc_u32_e32 v64, 0x1c00, v124
	v_add_nc_u32_e32 v65, 0x2400, v124
	;; [unrolled: 1-line block ×3, first 2 shown]
	ds_read2_b64 v[104:107], v68 offset0:80 offset1:200
	ds_read2_b64 v[100:103], v64 offset0:64 offset1:184
	;; [unrolled: 1-line block ×5, first 2 shown]
	ds_read_b64 v[119:120], v124 offset:15360
.LBB0_15:
	s_or_b32 exec_lo, exec_lo, s1
	s_waitcnt lgkmcnt(0)
	v_sub_f32_e32 v207, v83, v120
	v_add_f32_e32 v208, v120, v83
	v_add_f32_e32 v205, v119, v82
	v_sub_f32_e32 v165, v97, v79
	v_sub_f32_e32 v209, v82, v119
	v_mul_f32_e32 v213, 0xbeb8f4ab, v207
	v_mul_f32_e32 v216, 0xbf2c7751, v207
	;; [unrolled: 1-line block ×3, first 2 shown]
	v_add_f32_e32 v170, v79, v97
	v_add_f32_e32 v132, v78, v96
	v_fma_f32 v64, 0x3f6eb680, v205, -v213
	v_mul_f32_e32 v144, 0xbf2c7751, v165
	v_mul_f32_e32 v214, 0x3f6eb680, v208
	v_fma_f32 v68, 0x3f3d2fb0, v205, -v216
	v_mul_f32_e32 v222, 0x3ee437d1, v208
	v_add_f32_e32 v64, v80, v64
	v_mul_f32_e32 v225, 0xbf7ee86f, v207
	v_fmamk_f32 v69, v209, 0xbf2c7751, v218
	v_sub_f32_e32 v133, v96, v78
	v_mul_f32_e32 v134, 0xbf7ee86f, v165
	v_fma_f32 v135, 0x3f3d2fb0, v132, -v144
	v_mul_f32_e32 v137, 0x3dbcf732, v170
	v_fmamk_f32 v65, v209, 0xbeb8f4ab, v214
	v_mul_f32_e32 v220, 0xbf65296c, v207
	v_add_f32_e32 v68, v80, v68
	v_fmamk_f32 v71, v209, 0xbf65296c, v222
	v_fma_f32 v72, 0x3dbcf732, v205, -v225
	v_add_f32_e32 v69, v81, v69
	v_mul_f32_e32 v230, 0xbf763a35, v207
	v_mul_f32_e32 v145, 0x3f3d2fb0, v170
	v_fma_f32 v138, 0x3dbcf732, v132, -v134
	v_add_f32_e32 v64, v135, v64
	v_mul_f32_e32 v155, 0xbf1a4643, v170
	v_mul_f32_e32 v140, 0xbe3c28d5, v165
	v_fmamk_f32 v135, v133, 0xbf7ee86f, v137
	v_sub_f32_e32 v179, v99, v77
	v_add_f32_e32 v65, v81, v65
	v_fma_f32 v70, 0x3ee437d1, v205, -v220
	v_add_f32_e32 v71, v81, v71
	v_add_f32_e32 v72, v80, v72
	v_fma_f32 v74, 0xbe8c1d8e, v205, -v230
	v_fmamk_f32 v136, v133, 0xbf2c7751, v145
	v_add_f32_e32 v68, v138, v68
	v_mul_f32_e32 v154, 0xbf4c4adb, v165
	v_fmamk_f32 v138, v133, 0xbf4c4adb, v155
	v_fma_f32 v139, 0xbf7ba420, v132, -v140
	v_add_f32_e32 v69, v135, v69
	v_mul_f32_e32 v167, 0x3f06c442, v165
	v_add_f32_e32 v135, v76, v98
	v_mul_f32_e32 v152, 0xbf65296c, v179
	v_mul_f32_e32 v226, 0x3dbcf732, v208
	v_add_f32_e32 v70, v80, v70
	v_add_f32_e32 v74, v80, v74
	;; [unrolled: 1-line block ×3, first 2 shown]
	v_fma_f32 v136, 0xbf1a4643, v132, -v154
	v_add_f32_e32 v71, v138, v71
	v_add_f32_e32 v72, v139, v72
	;; [unrolled: 1-line block ×3, first 2 shown]
	v_fma_f32 v139, 0xbf59a7d5, v132, -v167
	v_mul_f32_e32 v138, 0xbf4c4adb, v179
	v_fma_f32 v143, 0x3ee437d1, v135, -v152
	v_fmamk_f32 v73, v209, 0xbf7ee86f, v226
	v_mul_f32_e32 v233, 0xbe8c1d8e, v208
	v_mul_f32_e32 v142, 0xbf7ba420, v170
	v_add_f32_e32 v70, v136, v70
	v_sub_f32_e32 v136, v98, v76
	v_mul_f32_e32 v153, 0x3ee437d1, v186
	v_add_f32_e32 v74, v139, v74
	v_fma_f32 v139, 0xbf1a4643, v135, -v138
	v_add_f32_e32 v64, v143, v64
	v_mul_f32_e32 v143, 0xbf1a4643, v186
	v_add_f32_e32 v73, v81, v73
	v_fmamk_f32 v75, v209, 0xbf763a35, v233
	v_fmamk_f32 v141, v133, 0xbe3c28d5, v142
	v_mul_f32_e32 v174, 0xbf59a7d5, v170
	v_fmamk_f32 v146, v136, 0xbf65296c, v153
	v_add_f32_e32 v68, v139, v68
	v_mul_f32_e32 v166, 0xbf7ba420, v186
	v_mul_f32_e32 v148, 0x3f763a35, v179
	v_fmamk_f32 v139, v136, 0xbf4c4adb, v143
	v_sub_f32_e32 v193, v85, v95
	v_add_f32_e32 v75, v81, v75
	v_add_f32_e32 v73, v141, v73
	v_fmamk_f32 v141, v133, 0x3f06c442, v174
	v_add_f32_e32 v65, v146, v65
	v_mul_f32_e32 v164, 0x3e3c28d5, v179
	v_mul_f32_e32 v150, 0xbe8c1d8e, v186
	v_fmamk_f32 v146, v136, 0x3e3c28d5, v166
	v_fma_f32 v147, 0xbe8c1d8e, v135, -v148
	v_add_f32_e32 v69, v139, v69
	v_mul_f32_e32 v180, 0x3f2c7751, v179
	v_add_f32_e32 v139, v94, v84
	v_mul_f32_e32 v162, 0xbf7ee86f, v193
	v_add_f32_e32 v75, v141, v75
	v_fma_f32 v141, 0xbf7ba420, v135, -v164
	v_fmamk_f32 v149, v136, 0x3f763a35, v150
	v_add_f32_e32 v71, v146, v71
	v_add_f32_e32 v72, v147, v72
	;; [unrolled: 1-line block ×3, first 2 shown]
	v_mul_f32_e32 v188, 0x3f3d2fb0, v186
	v_fma_f32 v147, 0x3f3d2fb0, v135, -v180
	v_mul_f32_e32 v146, 0xbe3c28d5, v193
	v_fma_f32 v151, 0x3dbcf732, v139, -v162
	v_add_f32_e32 v70, v141, v70
	v_add_f32_e32 v73, v149, v73
	v_sub_f32_e32 v141, v84, v94
	v_mul_f32_e32 v163, 0x3dbcf732, v198
	v_fmamk_f32 v149, v136, 0x3f2c7751, v188
	v_add_f32_e32 v74, v147, v74
	v_fma_f32 v147, 0xbf7ba420, v139, -v146
	v_add_f32_e32 v64, v151, v64
	v_mul_f32_e32 v151, 0xbf7ba420, v198
	v_mul_f32_e32 v178, 0x3f763a35, v193
	;; [unrolled: 1-line block ×3, first 2 shown]
	v_fmamk_f32 v156, v141, 0xbf7ee86f, v163
	v_add_f32_e32 v75, v149, v75
	v_add_f32_e32 v68, v147, v68
	v_mul_f32_e32 v181, 0xbe8c1d8e, v198
	v_fmamk_f32 v147, v141, 0xbe3c28d5, v151
	v_mul_f32_e32 v161, 0x3f6eb680, v198
	v_fma_f32 v149, 0xbe8c1d8e, v139, -v178
	v_fma_f32 v157, 0x3f6eb680, v139, -v158
	v_mul_f32_e32 v200, 0x3ee437d1, v198
	v_add_f32_e32 v215, v93, v87
	v_add_f32_e32 v65, v156, v65
	v_fmamk_f32 v156, v141, 0x3f763a35, v181
	v_add_f32_e32 v69, v147, v69
	v_fmamk_f32 v147, v141, 0x3eb8f4ab, v161
	v_add_f32_e32 v70, v149, v70
	v_add_f32_e32 v72, v157, v72
	v_mul_f32_e32 v194, 0xbf65296c, v193
	v_sub_f32_e32 v210, v87, v93
	v_sub_f32_e32 v149, v86, v92
	v_fmamk_f32 v157, v141, 0xbf65296c, v200
	v_mul_f32_e32 v160, 0xbf59a7d5, v215
	v_add_f32_e32 v71, v156, v71
	v_add_f32_e32 v73, v147, v73
	v_fma_f32 v156, 0x3ee437d1, v139, -v194
	v_add_f32_e32 v147, v92, v86
	v_add_f32_e32 v75, v157, v75
	v_fmamk_f32 v157, v149, 0x3f06c442, v160
	v_mul_f32_e32 v192, 0x3f2c7751, v210
	v_mul_f32_e32 v176, 0xbf763a35, v210
	;; [unrolled: 1-line block ×3, first 2 shown]
	v_add_f32_e32 v74, v156, v74
	v_mul_f32_e32 v156, 0x3f06c442, v210
	v_add_f32_e32 v69, v157, v69
	v_fma_f32 v157, 0x3f3d2fb0, v147, -v192
	v_mul_f32_e32 v211, 0xbe3c28d5, v210
	v_fma_f32 v159, 0xbe8c1d8e, v147, -v176
	v_fmamk_f32 v168, v149, 0xbf763a35, v177
	v_fma_f32 v169, 0xbf59a7d5, v147, -v156
	v_mul_f32_e32 v196, 0x3f3d2fb0, v215
	v_mul_f32_e32 v171, 0xbf65296c, v210
	;; [unrolled: 1-line block ×3, first 2 shown]
	v_add_f32_e32 v70, v157, v70
	v_fma_f32 v157, 0xbf7ba420, v147, -v211
	v_sub_f32_e32 v228, v105, v91
	v_add_f32_e32 v64, v159, v64
	v_add_f32_e32 v65, v168, v65
	;; [unrolled: 1-line block ×3, first 2 shown]
	v_fmamk_f32 v159, v149, 0x3f2c7751, v196
	v_fma_f32 v168, 0x3ee437d1, v147, -v171
	v_fmamk_f32 v169, v149, 0xbf65296c, v175
	v_mul_f32_e32 v219, 0xbf7ba420, v215
	v_add_f32_e32 v231, v91, v105
	v_add_f32_e32 v74, v157, v74
	;; [unrolled: 1-line block ×3, first 2 shown]
	v_mul_f32_e32 v190, 0xbf4c4adb, v228
	v_add_f32_e32 v71, v159, v71
	v_add_f32_e32 v72, v168, v72
	;; [unrolled: 1-line block ×3, first 2 shown]
	v_sub_f32_e32 v159, v104, v90
	v_fmamk_f32 v169, v149, 0xbe3c28d5, v219
	v_mul_f32_e32 v168, 0x3f763a35, v228
	v_fma_f32 v172, 0xbf1a4643, v157, -v190
	v_mul_f32_e32 v173, 0xbe8c1d8e, v231
	v_mul_f32_e32 v206, 0xbeb8f4ab, v228
	v_add_f32_e32 v75, v169, v75
	v_fma_f32 v169, 0xbe8c1d8e, v157, -v168
	v_add_f32_e32 v64, v172, v64
	v_fmamk_f32 v172, v159, 0x3f763a35, v173
	v_mul_f32_e32 v212, 0x3f6eb680, v231
	v_mul_f32_e32 v191, 0xbf1a4643, v231
	v_add_f32_e32 v68, v169, v68
	v_fma_f32 v169, 0x3f6eb680, v157, -v206
	v_add_f32_e32 v69, v172, v69
	v_mul_f32_e32 v189, 0xbf59a7d5, v231
	v_fmamk_f32 v172, v159, 0xbeb8f4ab, v212
	v_mul_f32_e32 v227, 0x3f7ee86f, v228
	v_fmamk_f32 v182, v159, 0xbf4c4adb, v191
	v_mul_f32_e32 v185, 0xbf06c442, v228
	v_add_f32_e32 v70, v169, v70
	v_fmamk_f32 v169, v159, 0xbf06c442, v189
	v_add_f32_e32 v71, v172, v71
	v_fma_f32 v172, 0x3dbcf732, v157, -v227
	v_sub_f32_e32 v237, v107, v89
	v_add_f32_e32 v239, v89, v107
	v_add_f32_e32 v65, v182, v65
	v_fma_f32 v182, 0xbf59a7d5, v157, -v185
	v_mul_f32_e32 v232, 0x3dbcf732, v231
	v_add_f32_e32 v73, v169, v73
	v_add_f32_e32 v74, v172, v74
	;; [unrolled: 1-line block ×3, first 2 shown]
	v_mul_f32_e32 v202, 0xbf06c442, v237
	v_sub_f32_e32 v172, v106, v88
	v_mul_f32_e32 v203, 0xbf59a7d5, v239
	v_add_f32_e32 v72, v182, v72
	v_fmamk_f32 v182, v159, 0x3f7ee86f, v232
	v_fma_f32 v183, 0xbf59a7d5, v169, -v202
	v_mul_f32_e32 v187, 0x3ee437d1, v239
	v_fmamk_f32 v184, v172, 0xbf06c442, v203
	v_mul_f32_e32 v224, 0xbf7ee86f, v237
	v_add_f32_e32 v75, v182, v75
	v_mul_f32_e32 v182, 0x3f65296c, v237
	v_add_f32_e32 v64, v183, v64
	v_fmamk_f32 v183, v172, 0x3f65296c, v187
	v_add_f32_e32 v65, v184, v65
	v_fma_f32 v184, 0x3dbcf732, v169, -v224
	v_mul_f32_e32 v229, 0x3dbcf732, v239
	v_mul_f32_e32 v199, 0x3f4c4adb, v237
	v_fma_f32 v195, 0x3ee437d1, v169, -v182
	v_add_f32_e32 v69, v183, v69
	v_add_f32_e32 v204, v184, v70
	v_mul_f32_e32 v201, 0xbf1a4643, v239
	v_fmamk_f32 v70, v172, 0xbf7ee86f, v229
	v_mul_f32_e32 v236, 0xbeb8f4ab, v237
	v_fma_f32 v183, 0xbf1a4643, v169, -v199
	v_sub_f32_e32 v242, v101, v103
	v_add_f32_e32 v68, v195, v68
	v_mul_f32_e32 v238, 0x3f6eb680, v239
	v_fmamk_f32 v184, v172, 0x3f4c4adb, v201
	v_add_f32_e32 v244, v70, v71
	v_fma_f32 v70, 0x3f6eb680, v169, -v236
	v_add_f32_e32 v72, v183, v72
	v_add_f32_e32 v243, v103, v101
	;; [unrolled: 1-line block ×3, first 2 shown]
	v_mul_f32_e32 v221, 0xbe3c28d5, v242
	v_mul_f32_e32 v195, 0x3eb8f4ab, v242
	;; [unrolled: 1-line block ×3, first 2 shown]
	v_fmamk_f32 v71, v172, 0xbeb8f4ab, v238
	v_add_f32_e32 v73, v184, v73
	v_add_f32_e32 v245, v70, v74
	v_sub_f32_e32 v184, v100, v102
	v_mul_f32_e32 v223, 0xbf7ba420, v243
	v_mul_f32_e32 v197, 0x3f6eb680, v243
	v_fma_f32 v70, 0xbf7ba420, v183, -v221
	v_fma_f32 v74, 0x3f6eb680, v183, -v195
	;; [unrolled: 1-line block ×3, first 2 shown]
	v_add_f32_e32 v246, v71, v75
	v_fmamk_f32 v71, v184, 0xbe3c28d5, v223
	v_fmamk_f32 v75, v184, 0x3eb8f4ab, v197
	v_add_f32_e32 v64, v70, v64
	v_add_f32_e32 v70, v74, v68
	v_mul_f32_e32 v235, 0xbf59a7d5, v243
	v_add_f32_e32 v68, v217, v204
	v_mul_f32_e32 v204, 0x3f2c7751, v242
	v_mul_f32_e32 v217, 0x3f3d2fb0, v243
	v_mul_f32_e32 v240, 0xbf4c4adb, v242
	v_mul_f32_e32 v241, 0xbf1a4643, v243
	v_add_f32_e32 v65, v71, v65
	v_add_f32_e32 v71, v75, v69
	v_fmamk_f32 v69, v184, 0xbf06c442, v235
	v_fma_f32 v74, 0x3f3d2fb0, v183, -v204
	v_fmamk_f32 v75, v184, 0x3f2c7751, v217
	v_fma_f32 v247, 0xbf1a4643, v183, -v240
	v_fmamk_f32 v248, v184, 0xbf4c4adb, v241
	v_add_f32_e32 v69, v69, v244
	v_add_f32_e32 v74, v74, v72
	;; [unrolled: 1-line block ×5, first 2 shown]
	s_barrier
	buffer_gl0_inv
	s_and_saveexec_b32 s1, vcc_lo
	s_cbranch_execz .LBB0_17
; %bb.16:
	v_add_f32_e32 v83, v83, v81
	v_add_f32_e32 v82, v82, v80
	v_mul_f32_e32 v253, 0x3f7ee86f, v184
	v_mul_f32_e32 v254, 0x3f7ee86f, v242
	v_add_f32_e32 v83, v97, v83
	v_add_f32_e32 v82, v96, v82
	v_mul_f32_e32 v97, 0x3f6eb680, v205
	v_mul_f32_e32 v96, 0xbeb8f4ab, v209
	v_add_f32_e32 v83, v99, v83
	v_add_f32_e32 v82, v98, v82
	v_mul_f32_e32 v98, 0xbe3c28d5, v209
	v_add_f32_e32 v97, v97, v213
	v_sub_f32_e32 v96, v214, v96
	v_add_f32_e32 v83, v85, v83
	v_add_f32_e32 v82, v84, v82
	v_mul_f32_e32 v85, 0xbe8c1d8e, v205
	v_mul_f32_e32 v84, 0xbf763a35, v209
	v_fmamk_f32 v99, v208, 0xbf7ba420, v98
	v_add_f32_e32 v83, v87, v83
	v_add_f32_e32 v82, v86, v82
	v_mul_f32_e32 v86, 0xbf7ee86f, v209
	v_mul_f32_e32 v87, 0x3dbcf732, v205
	v_add_f32_e32 v85, v85, v230
	v_add_f32_e32 v83, v105, v83
	;; [unrolled: 1-line block ×3, first 2 shown]
	v_mul_f32_e32 v104, 0xbe3c28d5, v207
	v_mul_f32_e32 v105, 0xbf06c442, v207
	v_sub_f32_e32 v86, v226, v86
	v_add_f32_e32 v83, v107, v83
	v_add_f32_e32 v82, v106, v82
	v_mul_f32_e32 v106, 0xbf4c4adb, v207
	v_add_f32_e32 v87, v87, v225
	v_fma_f32 v98, 0xbf7ba420, v208, -v98
	v_add_f32_e32 v83, v101, v83
	v_add_f32_e32 v82, v100, v82
	v_mul_f32_e32 v100, 0xbf06c442, v209
	v_fma_f32 v107, 0xbf7ba420, v205, -v104
	v_fmac_f32_e32 v104, 0xbf7ba420, v205
	v_add_f32_e32 v83, v103, v83
	v_add_f32_e32 v82, v102, v82
	v_fmamk_f32 v101, v208, 0xbf59a7d5, v100
	v_fma_f32 v100, 0xbf59a7d5, v208, -v100
	v_mul_f32_e32 v102, 0xbf1a4643, v208
	v_add_f32_e32 v83, v89, v83
	v_add_f32_e32 v82, v88, v82
	v_mul_f32_e32 v89, 0x3ee437d1, v205
	v_mul_f32_e32 v88, 0xbf65296c, v209
	v_fma_f32 v207, 0xbf59a7d5, v205, -v105
	v_add_f32_e32 v83, v91, v83
	v_mul_f32_e32 v91, 0x3f3d2fb0, v205
	v_add_f32_e32 v82, v90, v82
	v_add_f32_e32 v89, v89, v220
	v_mul_f32_e32 v90, 0xbf2c7751, v209
	v_fmac_f32_e32 v105, 0xbf59a7d5, v205
	v_add_f32_e32 v91, v91, v216
	v_fmamk_f32 v208, v205, 0xbf1a4643, v106
	v_fma_f32 v106, 0xbf1a4643, v205, -v106
	v_sub_f32_e32 v84, v233, v84
	v_sub_f32_e32 v88, v222, v88
	;; [unrolled: 1-line block ×3, first 2 shown]
	v_fmamk_f32 v103, v209, 0x3f4c4adb, v102
	v_fmac_f32_e32 v102, 0xbf4c4adb, v209
	v_add_f32_e32 v205, v80, v207
	v_add_f32_e32 v107, v80, v107
	;; [unrolled: 1-line block ×13, first 2 shown]
	v_mul_f32_e32 v86, 0x3f65296c, v133
	v_add_f32_e32 v101, v81, v101
	v_add_f32_e32 v99, v81, v99
	;; [unrolled: 1-line block ×12, first 2 shown]
	v_fmamk_f32 v80, v170, 0x3ee437d1, v86
	v_mul_f32_e32 v87, 0x3f65296c, v165
	v_mul_f32_e32 v88, 0xbf7ee86f, v136
	v_add_f32_e32 v226, v94, v81
	v_mul_f32_e32 v89, 0xbf7ee86f, v179
	v_add_f32_e32 v80, v80, v101
	v_fma_f32 v81, 0x3ee437d1, v132, -v87
	v_fmamk_f32 v82, v186, 0x3dbcf732, v88
	v_mul_f32_e32 v90, 0x3f4c4adb, v141
	v_mul_f32_e32 v91, 0x3f4c4adb, v193
	;; [unrolled: 1-line block ×3, first 2 shown]
	v_add_f32_e32 v81, v81, v205
	v_add_f32_e32 v80, v82, v80
	v_fma_f32 v82, 0x3dbcf732, v135, -v89
	v_mul_f32_e32 v93, 0xbeb8f4ab, v210
	v_mul_f32_e32 v94, 0xbe3c28d5, v159
	;; [unrolled: 1-line block ×4, first 2 shown]
	v_add_f32_e32 v81, v82, v81
	v_fmamk_f32 v82, v198, 0xbf1a4643, v90
	v_mul_f32_e32 v205, 0x3f2c7751, v237
	v_mul_f32_e32 v230, 0xbf763a35, v184
	;; [unrolled: 1-line block ×4, first 2 shown]
	v_add_f32_e32 v80, v82, v80
	v_fma_f32 v82, 0xbf1a4643, v139, -v91
	v_mul_f32_e32 v85, 0x3eb8f4ab, v165
	v_fma_f32 v86, 0x3ee437d1, v170, -v86
	v_fmac_f32_e32 v87, 0x3ee437d1, v132
	v_fma_f32 v88, 0x3dbcf732, v186, -v88
	v_add_f32_e32 v81, v82, v81
	v_fmamk_f32 v82, v215, 0x3f6eb680, v92
	v_fma_f32 v83, 0x3f6eb680, v132, -v85
	v_fmac_f32_e32 v85, 0x3f6eb680, v132
	v_add_f32_e32 v86, v86, v100
	v_add_f32_e32 v87, v87, v105
	;; [unrolled: 1-line block ×3, first 2 shown]
	v_fma_f32 v82, 0x3f6eb680, v147, -v93
	v_add_f32_e32 v83, v83, v107
	v_add_f32_e32 v85, v85, v104
	v_fmac_f32_e32 v89, 0x3dbcf732, v135
	v_add_f32_e32 v86, v88, v86
	v_add_f32_e32 v81, v82, v81
	v_fmamk_f32 v82, v231, 0xbf7ba420, v94
	v_fma_f32 v88, 0xbf1a4643, v198, -v90
	v_add_f32_e32 v87, v89, v87
	v_fmac_f32_e32 v91, 0xbf1a4643, v139
	v_fmac_f32_e32 v93, 0x3f6eb680, v147
	v_add_f32_e32 v80, v82, v80
	v_fma_f32 v82, 0xbf7ba420, v157, -v95
	v_add_f32_e32 v86, v88, v86
	v_fma_f32 v88, 0x3f6eb680, v215, -v92
	v_add_f32_e32 v87, v91, v87
	v_fmac_f32_e32 v95, 0xbf7ba420, v157
	v_add_f32_e32 v81, v82, v81
	v_fmamk_f32 v82, v239, 0x3f3d2fb0, v101
	v_add_f32_e32 v86, v88, v86
	v_fma_f32 v88, 0xbf7ba420, v231, -v94
	v_add_f32_e32 v87, v93, v87
	v_mul_f32_e32 v100, 0x3f6eb680, v186
	v_add_f32_e32 v80, v82, v80
	v_fma_f32 v82, 0x3f3d2fb0, v169, -v205
	v_add_f32_e32 v86, v88, v86
	v_fma_f32 v88, 0x3f3d2fb0, v239, -v101
	v_add_f32_e32 v87, v95, v87
	v_fmac_f32_e32 v205, 0x3f3d2fb0, v169
	v_add_f32_e32 v82, v82, v81
	v_fmamk_f32 v81, v243, 0xbe8c1d8e, v230
	v_add_f32_e32 v86, v88, v86
	v_fmamk_f32 v89, v136, 0x3eb8f4ab, v100
	v_add_f32_e32 v88, v205, v87
	v_fma_f32 v87, 0xbe8c1d8e, v243, -v230
	v_add_f32_e32 v81, v81, v80
	v_fma_f32 v80, 0xbe8c1d8e, v183, -v233
	v_fmac_f32_e32 v233, 0xbe8c1d8e, v183
	v_mul_f32_e32 v101, 0xbf59a7d5, v198
	v_add_f32_e32 v87, v87, v86
	v_mul_f32_e32 v104, 0x3f3d2fb0, v231
	v_add_f32_e32 v80, v80, v82
	v_fmamk_f32 v82, v170, 0x3f6eb680, v84
	v_fma_f32 v84, 0x3f6eb680, v170, -v84
	v_add_f32_e32 v86, v233, v88
	v_fmamk_f32 v90, v159, 0x3f2c7751, v104
	v_mul_f32_e32 v105, 0xbeb8f4ab, v179
	v_add_f32_e32 v82, v82, v99
	v_mul_f32_e32 v99, 0xbf06c442, v136
	v_add_f32_e32 v84, v84, v98
	v_mul_f32_e32 v91, 0x3f2c7751, v136
	v_mul_f32_e32 v92, 0xbf59a7d5, v132
	;; [unrolled: 1-line block ×3, first 2 shown]
	v_fmamk_f32 v107, v186, 0xbf59a7d5, v99
	v_fma_f32 v98, 0xbf59a7d5, v186, -v99
	v_mul_f32_e32 v99, 0x3f763a35, v165
	v_mul_f32_e32 v165, 0xbf06c442, v193
	;; [unrolled: 1-line block ×3, first 2 shown]
	v_add_f32_e32 v82, v107, v82
	v_mul_f32_e32 v107, 0xbf06c442, v179
	v_add_f32_e32 v84, v98, v84
	v_mul_f32_e32 v179, 0xbf2c7751, v228
	v_sub_f32_e32 v91, v188, v91
	v_add_f32_e32 v92, v92, v167
	v_fma_f32 v244, 0xbf59a7d5, v135, -v107
	v_fmac_f32_e32 v107, 0xbf59a7d5, v135
	v_add_f32_e32 v93, v93, v180
	v_mul_f32_e32 v95, 0xbeb8f4ab, v159
	v_add_f32_e32 v92, v92, v209
	v_add_f32_e32 v83, v244, v83
	v_mul_f32_e32 v244, 0x3f2c7751, v141
	v_add_f32_e32 v85, v107, v85
	v_mul_f32_e32 v107, 0xbf7ba420, v239
	;; [unrolled: 2-line block ×3, first 2 shown]
	v_fmamk_f32 v245, v198, 0x3f3d2fb0, v244
	v_fma_f32 v98, 0x3f3d2fb0, v198, -v244
	v_mul_f32_e32 v198, 0x3f65296c, v242
	v_sub_f32_e32 v95, v212, v95
	v_add_f32_e32 v93, v93, v194
	v_add_f32_e32 v82, v245, v82
	v_mul_f32_e32 v245, 0x3f2c7751, v193
	v_add_f32_e32 v84, v98, v84
	v_mul_f32_e32 v193, 0x3ee437d1, v243
	v_fmac_f32_e32 v100, 0xbeb8f4ab, v136
	v_add_f32_e32 v77, v77, v225
	v_fma_f32 v246, 0x3f3d2fb0, v139, -v245
	v_fmac_f32_e32 v245, 0x3f3d2fb0, v139
	v_add_f32_e32 v76, v76, v226
	v_fmac_f32_e32 v104, 0xbf2c7751, v159
	v_add_f32_e32 v77, v79, v77
	v_add_f32_e32 v83, v246, v83
	v_mul_f32_e32 v246, 0xbf4c4adb, v149
	v_add_f32_e32 v85, v245, v85
	v_add_f32_e32 v76, v78, v76
	;; [unrolled: 1-line block ×3, first 2 shown]
	v_fmamk_f32 v247, v215, 0xbf1a4643, v246
	v_fma_f32 v98, 0xbf1a4643, v215, -v246
	v_add_f32_e32 v76, v119, v76
	v_add_f32_e32 v82, v247, v82
	v_mul_f32_e32 v247, 0xbf4c4adb, v210
	v_add_f32_e32 v84, v98, v84
	v_fma_f32 v248, 0xbf1a4643, v147, -v247
	v_fmac_f32_e32 v247, 0xbf1a4643, v147
	v_add_f32_e32 v83, v248, v83
	v_mul_f32_e32 v248, 0x3f65296c, v159
	v_add_f32_e32 v85, v247, v85
	v_fmamk_f32 v249, v231, 0x3ee437d1, v248
	v_fma_f32 v98, 0x3ee437d1, v231, -v248
	v_add_f32_e32 v82, v249, v82
	v_mul_f32_e32 v249, 0x3f65296c, v228
	v_add_f32_e32 v84, v98, v84
	v_fma_f32 v250, 0x3ee437d1, v157, -v249
	v_fmac_f32_e32 v249, 0x3ee437d1, v157
	v_add_f32_e32 v83, v250, v83
	v_mul_f32_e32 v250, 0xbf763a35, v172
	v_add_f32_e32 v85, v249, v85
	v_fmamk_f32 v251, v239, 0xbe8c1d8e, v250
	v_fma_f32 v98, 0xbe8c1d8e, v239, -v250
	v_add_f32_e32 v82, v251, v82
	v_mul_f32_e32 v251, 0xbf763a35, v237
	v_add_f32_e32 v84, v98, v84
	v_fma_f32 v252, 0xbe8c1d8e, v169, -v251
	v_fmac_f32_e32 v251, 0xbe8c1d8e, v169
	v_add_f32_e32 v252, v252, v83
	v_fmamk_f32 v83, v243, 0x3dbcf732, v253
	v_add_f32_e32 v98, v251, v85
	v_fma_f32 v85, 0x3dbcf732, v243, -v253
	v_add_f32_e32 v83, v83, v82
	v_fma_f32 v82, 0x3dbcf732, v183, -v254
	v_fmac_f32_e32 v254, 0x3dbcf732, v183
	v_add_f32_e32 v85, v85, v84
	v_add_f32_e32 v82, v82, v252
	;; [unrolled: 1-line block ×3, first 2 shown]
	v_mul_f32_e32 v98, 0xbe8c1d8e, v170
	v_mul_f32_e32 v170, 0x3f7ee86f, v210
	v_fmamk_f32 v88, v133, 0xbf763a35, v98
	v_fmac_f32_e32 v98, 0x3f763a35, v133
	v_add_f32_e32 v88, v88, v103
	v_mul_f32_e32 v103, 0x3dbcf732, v215
	v_add_f32_e32 v98, v98, v102
	v_add_f32_e32 v88, v89, v88
	v_fmamk_f32 v89, v141, 0x3f06c442, v101
	v_fmac_f32_e32 v101, 0xbf06c442, v141
	v_add_f32_e32 v88, v89, v88
	v_fmamk_f32 v89, v149, 0xbf7ee86f, v103
	v_fmac_f32_e32 v103, 0x3f7ee86f, v149
	v_add_f32_e32 v88, v89, v88
	v_fmamk_f32 v89, v132, 0xbe8c1d8e, v99
	v_fma_f32 v99, 0xbe8c1d8e, v132, -v99
	v_add_f32_e32 v88, v90, v88
	v_add_f32_e32 v89, v89, v207
	v_fmamk_f32 v90, v135, 0x3f6eb680, v105
	v_add_f32_e32 v102, v99, v106
	v_fma_f32 v105, 0x3f6eb680, v135, -v105
	v_add_f32_e32 v89, v90, v89
	v_fmamk_f32 v90, v172, 0x3e3c28d5, v107
	v_fmac_f32_e32 v107, 0xbe3c28d5, v172
	v_add_f32_e32 v88, v90, v88
	v_fmamk_f32 v90, v139, 0xbf59a7d5, v165
	v_add_f32_e32 v89, v90, v89
	v_fmamk_f32 v90, v147, 0x3dbcf732, v170
	;; [unrolled: 2-line block ×5, first 2 shown]
	v_fmac_f32_e32 v193, 0x3f65296c, v184
	v_add_f32_e32 v89, v89, v88
	v_fmamk_f32 v88, v183, 0x3ee437d1, v198
	v_add_f32_e32 v88, v88, v90
	v_mul_f32_e32 v90, 0x3f06c442, v133
	v_sub_f32_e32 v90, v174, v90
	v_add_f32_e32 v90, v90, v208
	v_add_f32_e32 v90, v91, v90
	v_mul_f32_e32 v91, 0xbf65296c, v141
	v_sub_f32_e32 v91, v200, v91
	v_add_f32_e32 v90, v91, v90
	v_mul_f32_e32 v91, 0xbe3c28d5, v149
	v_sub_f32_e32 v91, v219, v91
	;; [unrolled: 3-line block ×3, first 2 shown]
	v_add_f32_e32 v90, v91, v90
	v_add_f32_e32 v91, v93, v92
	v_mul_f32_e32 v92, 0xbf7ba420, v147
	v_mul_f32_e32 v93, 0xbeb8f4ab, v172
	v_add_f32_e32 v92, v92, v211
	v_sub_f32_e32 v93, v238, v93
	v_add_f32_e32 v91, v92, v91
	v_mul_f32_e32 v92, 0x3dbcf732, v157
	v_add_f32_e32 v90, v93, v90
	v_mul_f32_e32 v93, 0xbf4c4adb, v184
	v_add_f32_e32 v92, v92, v227
	v_sub_f32_e32 v93, v241, v93
	v_add_f32_e32 v91, v92, v91
	v_mul_f32_e32 v92, 0x3f6eb680, v169
	v_add_f32_e32 v92, v92, v236
	v_add_f32_e32 v92, v92, v91
	v_mul_f32_e32 v91, 0xbf1a4643, v183
	v_add_f32_e32 v94, v91, v240
	;; [unrolled: 3-line block ×3, first 2 shown]
	v_mul_f32_e32 v92, 0xbf4c4adb, v133
	v_sub_f32_e32 v93, v166, v93
	v_mul_f32_e32 v94, 0xbf1a4643, v132
	v_sub_f32_e32 v92, v155, v92
	v_add_f32_e32 v94, v94, v154
	v_add_f32_e32 v92, v92, v216
	;; [unrolled: 1-line block ×3, first 2 shown]
	v_mul_f32_e32 v93, 0x3f763a35, v141
	v_sub_f32_e32 v93, v181, v93
	v_add_f32_e32 v92, v93, v92
	v_mul_f32_e32 v93, 0x3f2c7751, v149
	v_sub_f32_e32 v93, v196, v93
	v_add_f32_e32 v92, v93, v92
	v_add_f32_e32 v93, v94, v218
	v_mul_f32_e32 v94, 0xbf7ba420, v135
	v_add_f32_e32 v92, v95, v92
	v_mul_f32_e32 v95, 0xbf7ee86f, v172
	v_add_f32_e32 v94, v94, v164
	v_sub_f32_e32 v95, v229, v95
	v_add_f32_e32 v93, v94, v93
	v_mul_f32_e32 v94, 0xbe8c1d8e, v139
	v_add_f32_e32 v92, v95, v92
	v_mul_f32_e32 v95, 0xbf06c442, v184
	v_add_f32_e32 v94, v94, v178
	v_sub_f32_e32 v95, v235, v95
	v_add_f32_e32 v93, v94, v93
	v_mul_f32_e32 v94, 0x3f3d2fb0, v147
	v_add_f32_e32 v94, v94, v192
	v_add_f32_e32 v93, v94, v93
	v_mul_f32_e32 v94, 0x3f6eb680, v157
	v_add_f32_e32 v94, v94, v206
	;; [unrolled: 3-line block ×5, first 2 shown]
	v_mul_f32_e32 v94, 0xbf2c7751, v133
	v_add_f32_e32 v95, v95, v144
	v_sub_f32_e32 v94, v145, v94
	v_add_f32_e32 v95, v95, v97
	v_mul_f32_e32 v97, 0x3ee437d1, v135
	v_add_f32_e32 v94, v94, v96
	v_mul_f32_e32 v96, 0xbf65296c, v136
	v_add_f32_e32 v97, v97, v152
	v_sub_f32_e32 v96, v153, v96
	v_add_f32_e32 v95, v97, v95
	v_mul_f32_e32 v97, 0x3dbcf732, v139
	v_add_f32_e32 v94, v96, v94
	;; [unrolled: 6-line block ×7, first 2 shown]
	v_mul_f32_e32 v97, 0x3f763a35, v136
	v_sub_f32_e32 v96, v142, v96
	v_mul_f32_e32 v142, 0xbf7ba420, v132
	v_sub_f32_e32 v97, v150, v97
	v_add_f32_e32 v96, v96, v213
	v_add_f32_e32 v140, v142, v140
	v_mul_f32_e32 v142, 0xbf06c442, v159
	v_add_f32_e32 v96, v97, v96
	v_mul_f32_e32 v97, 0x3eb8f4ab, v141
	v_sub_f32_e32 v142, v189, v142
	v_sub_f32_e32 v97, v161, v97
	v_add_f32_e32 v96, v97, v96
	v_mul_f32_e32 v97, 0xbf65296c, v149
	v_sub_f32_e32 v97, v175, v97
	v_add_f32_e32 v96, v97, v96
	v_add_f32_e32 v97, v140, v214
	v_mul_f32_e32 v140, 0xbe8c1d8e, v135
	v_add_f32_e32 v96, v142, v96
	v_mul_f32_e32 v142, 0x3f4c4adb, v172
	v_add_f32_e32 v140, v140, v148
	v_sub_f32_e32 v142, v201, v142
	v_add_f32_e32 v97, v140, v97
	v_mul_f32_e32 v140, 0x3f6eb680, v139
	v_add_f32_e32 v96, v142, v96
	v_mul_f32_e32 v142, 0xbf7ee86f, v133
	;; [unrolled: 2-line block ×3, first 2 shown]
	v_sub_f32_e32 v137, v137, v142
	v_add_f32_e32 v97, v140, v97
	v_mul_f32_e32 v140, 0x3ee437d1, v147
	v_mul_f32_e32 v142, 0x3f2c7751, v184
	v_add_f32_e32 v133, v133, v195
	v_add_f32_e32 v140, v140, v171
	v_sub_f32_e32 v142, v217, v142
	v_add_f32_e32 v97, v140, v97
	v_mul_f32_e32 v140, 0xbf59a7d5, v157
	v_add_f32_e32 v140, v140, v185
	v_add_f32_e32 v97, v140, v97
	v_mul_f32_e32 v140, 0xbf1a4643, v169
	v_add_f32_e32 v140, v140, v199
	v_add_f32_e32 v140, v140, v97
	;; [unrolled: 1-line block ×3, first 2 shown]
	v_mul_f32_e32 v137, 0xbf4c4adb, v136
	v_sub_f32_e32 v137, v143, v137
	v_mul_f32_e32 v143, 0x3dbcf732, v132
	v_add_f32_e32 v97, v137, v97
	v_add_f32_e32 v134, v143, v134
	v_mul_f32_e32 v137, 0xbe3c28d5, v141
	v_mul_f32_e32 v143, 0xbf1a4643, v135
	v_add_f32_e32 v134, v134, v222
	v_sub_f32_e32 v137, v151, v137
	v_add_f32_e32 v138, v143, v138
	v_mul_f32_e32 v143, 0x3f3d2fb0, v183
	v_add_f32_e32 v97, v137, v97
	v_mul_f32_e32 v137, 0x3f06c442, v149
	;; [unrolled: 2-line block ×3, first 2 shown]
	v_add_f32_e32 v143, v143, v204
	v_sub_f32_e32 v137, v160, v137
	v_add_f32_e32 v138, v138, v146
	v_add_f32_e32 v97, v137, v97
	v_mul_f32_e32 v137, 0x3f763a35, v159
	v_add_f32_e32 v134, v138, v134
	v_mul_f32_e32 v138, 0xbf59a7d5, v147
	v_sub_f32_e32 v137, v173, v137
	v_add_f32_e32 v138, v138, v156
	v_add_f32_e32 v97, v137, v97
	v_mul_f32_e32 v137, 0x3f65296c, v172
	v_add_f32_e32 v134, v138, v134
	v_mul_f32_e32 v138, 0xbe8c1d8e, v157
	v_sub_f32_e32 v137, v187, v137
	v_add_f32_e32 v138, v138, v168
	v_add_f32_e32 v137, v137, v97
	;; [unrolled: 1-line block ×3, first 2 shown]
	v_mul_f32_e32 v134, 0x3ee437d1, v169
	v_mul_f32_e32 v138, 0x3eb8f4ab, v184
	v_add_f32_e32 v134, v134, v182
	v_sub_f32_e32 v138, v197, v138
	v_add_f32_e32 v132, v134, v97
	v_add_f32_e32 v97, v142, v96
	;; [unrolled: 1-line block ×4, first 2 shown]
	v_fma_f32 v100, 0xbf59a7d5, v139, -v165
	v_fma_f32 v102, 0x3ee437d1, v183, -v198
	v_add_f32_e32 v99, v138, v137
	v_add_f32_e32 v96, v101, v96
	;; [unrolled: 1-line block ×3, first 2 shown]
	v_fma_f32 v100, 0x3dbcf732, v147, -v170
	v_add_f32_e32 v78, v103, v96
	v_fma_f32 v96, 0x3f3d2fb0, v157, -v179
	v_add_f32_e32 v79, v100, v98
	v_mul_lo_u16 v98, v123, 17
	v_add_f32_e32 v78, v104, v78
	v_mov_b32_e32 v100, 3
	v_add_f32_e32 v79, v96, v79
	v_fma_f32 v96, 0xbf7ba420, v169, -v186
	v_add_f32_e32 v78, v107, v78
	v_lshlrev_b32_sdwa v100, v100, v98 dst_sel:DWORD dst_unused:UNUSED_PAD src0_sel:DWORD src1_sel:WORD_0
	v_add_f32_e32 v98, v133, v132
	v_add_f32_e32 v101, v96, v79
	;; [unrolled: 1-line block ×5, first 2 shown]
	ds_write2_b64 v100, v[76:77], v[94:95] offset1:1
	ds_write2_b64 v100, v[98:99], v[92:93] offset0:2 offset1:3
	ds_write2_b64 v100, v[96:97], v[90:91] offset0:4 offset1:5
	;; [unrolled: 1-line block ×7, first 2 shown]
	ds_write_b64 v100, v[64:65] offset:128
.LBB0_17:
	s_or_b32 exec_lo, exec_lo, s1
	v_add_nc_u32_e32 v101, 0x800, v124
	v_add_nc_u32_e32 v76, 0x1e00, v124
	v_add_nc_u32_e32 v102, 0x2800, v124
	s_waitcnt lgkmcnt(0)
	s_barrier
	buffer_gl0_inv
	ds_read2_b64 v[77:80], v101 offset0:84 offset1:254
	ds_read2_b64 v[81:84], v76 offset0:60 offset1:230
	;; [unrolled: 1-line block ×3, first 2 shown]
	v_add_nc_u32_e32 v103, 0x1400, v124
	v_add_nc_u32_e32 v104, 0x3400, v124
	ds_read2_b64 v[89:92], v103 offset0:40 offset1:210
	ds_read2_b64 v[93:96], v104 offset0:36 offset1:206
	ds_read2_b64 v[97:100], v124 offset1:170
	s_waitcnt lgkmcnt(0)
	s_barrier
	buffer_gl0_inv
	v_mul_f32_e32 v106, v27, v82
	v_mul_f32_e32 v105, v25, v80
	;; [unrolled: 1-line block ×11, first 2 shown]
	v_fmac_f32_e32 v105, v24, v79
	v_fma_f32 v24, v24, v80, -v25
	v_fmac_f32_e32 v106, v26, v81
	v_fma_f32 v25, v26, v82, -v27
	v_fma_f32 v26, v115, v88, -v116
	v_fmac_f32_e32 v119, v20, v89
	v_fma_f32 v27, v20, v90, -v21
	v_fmac_f32_e32 v120, v22, v83
	;; [unrolled: 2-line block ×3, first 2 shown]
	v_mul_f32_e32 v80, v17, v92
	v_mul_f32_e32 v17, v17, v91
	;; [unrolled: 1-line block ×4, first 2 shown]
	v_sub_f32_e32 v25, v98, v25
	v_sub_f32_e32 v22, v24, v26
	v_fma_f32 v81, v16, v92, -v17
	v_fmac_f32_e32 v79, v18, v85
	v_fma_f32 v82, v18, v86, -v19
	v_mul_f32_e32 v17, v112, v95
	v_fma_f32 v26, v98, 2.0, -v25
	v_fma_f32 v24, v24, 2.0, -v22
	v_sub_f32_e32 v85, v99, v120
	v_sub_f32_e32 v86, v119, v132
	v_mul_f32_e32 v21, v114, v93
	v_fmac_f32_e32 v107, v115, v87
	v_sub_f32_e32 v23, v97, v106
	v_mul_f32_e32 v83, v112, v96
	v_fma_f32 v84, v111, v96, -v17
	v_sub_f32_e32 v17, v26, v24
	v_fma_f32 v88, v99, 2.0, -v85
	v_fma_f32 v24, v119, 2.0, -v86
	v_fma_f32 v21, v113, v94, -v21
	v_fmac_f32_e32 v80, v16, v91
	v_sub_f32_e32 v19, v105, v107
	v_fmac_f32_e32 v83, v111, v95
	v_sub_f32_e32 v87, v100, v20
	v_add_f32_e32 v20, v23, v22
	v_sub_f32_e32 v22, v88, v24
	v_sub_f32_e32 v89, v27, v21
	v_fma_f32 v16, v105, 2.0, -v19
	v_sub_f32_e32 v21, v25, v19
	v_fma_f32 v19, v26, 2.0, -v17
	v_fma_f32 v26, v88, 2.0, -v22
	v_sub_f32_e32 v88, v77, v79
	v_sub_f32_e32 v91, v78, v82
	;; [unrolled: 1-line block ×4, first 2 shown]
	v_fma_f32 v18, v97, 2.0, -v23
	v_fma_f32 v90, v100, 2.0, -v87
	;; [unrolled: 1-line block ×3, first 2 shown]
	v_add_f32_e32 v79, v85, v89
	v_fma_f32 v89, v77, 2.0, -v88
	v_fma_f32 v93, v78, 2.0, -v91
	;; [unrolled: 1-line block ×4, first 2 shown]
	v_sub_f32_e32 v16, v18, v16
	v_fma_f32 v24, v23, 2.0, -v20
	v_sub_f32_e32 v23, v90, v27
	v_sub_f32_e32 v80, v87, v86
	;; [unrolled: 1-line block ×4, first 2 shown]
	v_add_f32_e32 v83, v88, v83
	v_sub_f32_e32 v84, v91, v92
	v_fma_f32 v18, v18, 2.0, -v16
	v_fma_f32 v25, v25, 2.0, -v21
	;; [unrolled: 1-line block ×9, first 2 shown]
	ds_write2_b64 v127, v[18:19], v[24:25] offset1:17
	ds_write2_b64 v127, v[16:17], v[20:21] offset0:34 offset1:51
	ds_write2_b64 v126, v[26:27], v[77:78] offset1:17
	ds_write2_b64 v126, v[22:23], v[79:80] offset0:34 offset1:51
	;; [unrolled: 2-line block ×3, first 2 shown]
	s_waitcnt lgkmcnt(0)
	s_barrier
	buffer_gl0_inv
	ds_read2_b64 v[20:23], v103 offset0:40 offset1:210
	ds_read2_b64 v[24:27], v102 offset0:80 offset1:250
	;; [unrolled: 1-line block ×4, first 2 shown]
	ds_read2_b64 v[85:88], v124 offset1:170
	ds_read2_b64 v[16:19], v101 offset0:84 offset1:254
	s_waitcnt lgkmcnt(0)
	s_barrier
	buffer_gl0_inv
	v_mul_f32_e32 v89, v41, v21
	v_mul_f32_e32 v41, v41, v20
	;; [unrolled: 1-line block ×3, first 2 shown]
	v_fmac_f32_e32 v89, v40, v20
	v_mul_f32_e32 v20, v43, v24
	v_fma_f32 v21, v40, v21, -v41
	v_mul_f32_e32 v40, v37, v23
	v_fmac_f32_e32 v90, v42, v24
	v_mul_f32_e32 v24, v37, v22
	v_fma_f32 v25, v42, v25, -v20
	v_mul_f32_e32 v20, v39, v26
	v_fmac_f32_e32 v40, v36, v22
	v_mul_f32_e32 v22, v33, v77
	v_mul_f32_e32 v37, v39, v27
	v_mul_f32_e32 v39, v33, v78
	v_fma_f32 v27, v38, v27, -v20
	v_mul_f32_e32 v33, v35, v82
	v_mul_f32_e32 v20, v35, v81
	v_fma_f32 v35, v32, v78, -v22
	v_mul_f32_e32 v22, v29, v79
	v_fma_f32 v36, v36, v23, -v24
	v_fmac_f32_e32 v37, v38, v26
	v_fma_f32 v41, v34, v82, -v20
	v_mul_f32_e32 v20, v31, v83
	v_fma_f32 v43, v28, v80, -v22
	v_add_f32_e32 v22, v89, v90
	v_mul_f32_e32 v38, v29, v80
	v_add_f32_e32 v23, v85, v89
	v_add_f32_e32 v24, v21, v25
	v_fmac_f32_e32 v39, v32, v77
	v_fma_f32 v77, v30, v84, -v20
	v_fma_f32 v20, -0.5, v22, v85
	v_sub_f32_e32 v26, v21, v25
	v_fmac_f32_e32 v38, v28, v79
	v_add_f32_e32 v22, v23, v90
	v_add_f32_e32 v23, v86, v21
	v_fma_f32 v21, -0.5, v24, v86
	v_sub_f32_e32 v28, v89, v90
	v_mul_f32_e32 v42, v31, v84
	v_fmamk_f32 v24, v26, 0xbf5db3d7, v20
	v_fmac_f32_e32 v20, 0x3f5db3d7, v26
	v_add_f32_e32 v26, v40, v37
	v_add_f32_e32 v23, v23, v25
	v_fmamk_f32 v25, v28, 0x3f5db3d7, v21
	v_add_f32_e32 v29, v87, v40
	v_fmac_f32_e32 v21, 0xbf5db3d7, v28
	v_add_f32_e32 v28, v36, v27
	v_fmac_f32_e32 v33, v34, v81
	v_fmac_f32_e32 v42, v30, v83
	v_fma_f32 v87, -0.5, v26, v87
	v_sub_f32_e32 v30, v36, v27
	v_add_f32_e32 v26, v29, v37
	v_add_f32_e32 v29, v88, v36
	v_fmac_f32_e32 v88, -0.5, v28
	v_sub_f32_e32 v31, v40, v37
	v_fmamk_f32 v28, v30, 0xbf5db3d7, v87
	v_fmac_f32_e32 v87, 0x3f5db3d7, v30
	v_add_f32_e32 v30, v39, v33
	v_add_f32_e32 v27, v29, v27
	v_fmamk_f32 v29, v31, 0x3f5db3d7, v88
	v_fmac_f32_e32 v88, 0xbf5db3d7, v31
	v_add_f32_e32 v31, v35, v41
	v_add_f32_e32 v32, v16, v39
	v_fma_f32 v30, -0.5, v30, v16
	v_sub_f32_e32 v16, v35, v41
	v_add_f32_e32 v35, v17, v35
	v_fma_f32 v31, -0.5, v31, v17
	v_sub_f32_e32 v17, v39, v33
	v_add_f32_e32 v32, v32, v33
	v_fmamk_f32 v34, v16, 0xbf5db3d7, v30
	v_fmac_f32_e32 v30, 0x3f5db3d7, v16
	v_add_f32_e32 v16, v38, v42
	v_add_f32_e32 v33, v35, v41
	v_fmamk_f32 v35, v17, 0x3f5db3d7, v31
	v_fmac_f32_e32 v31, 0xbf5db3d7, v17
	v_add_f32_e32 v17, v43, v77
	v_add_f32_e32 v36, v18, v38
	v_fma_f32 v18, -0.5, v16, v18
	v_sub_f32_e32 v37, v43, v77
	v_add_f32_e32 v39, v19, v43
	v_fmac_f32_e32 v19, -0.5, v17
	v_sub_f32_e32 v38, v38, v42
	v_add_nc_u32_e32 v43, 0xc00, v124
	v_add_f32_e32 v36, v36, v42
	v_add_nc_u32_e32 v42, 0x1800, v124
	v_add_nc_u32_e32 v41, 0x2600, v124
	v_fmamk_f32 v16, v37, 0xbf5db3d7, v18
	v_fmac_f32_e32 v18, 0x3f5db3d7, v37
	v_add_f32_e32 v37, v39, v77
	v_add_nc_u32_e32 v40, 0x3200, v124
	v_fmamk_f32 v17, v38, 0x3f5db3d7, v19
	v_fmac_f32_e32 v19, 0xbf5db3d7, v38
	ds_write2_b64 v131, v[22:23], v[24:25] offset1:68
	ds_write_b64 v131, v[20:21] offset:1088
	ds_write2_b64 v130, v[26:27], v[28:29] offset1:68
	ds_write_b64 v130, v[87:88] offset:1088
	;; [unrolled: 2-line block ×4, first 2 shown]
	s_waitcnt lgkmcnt(0)
	s_barrier
	buffer_gl0_inv
	ds_read2_b64 v[20:23], v124 offset1:204
	ds_read2_b64 v[36:39], v43 offset0:24 offset1:228
	ds_read2_b64 v[32:35], v42 offset0:48 offset1:252
	ds_read2_b64 v[28:31], v41 offset0:8 offset1:212
	ds_read2_b64 v[24:27], v40 offset0:32 offset1:236
	s_and_saveexec_b32 s1, s0
	s_cbranch_execz .LBB0_19
; %bb.18:
	v_add_nc_u32_e32 v16, 0x400, v124
	v_add_nc_u32_e32 v60, 0x1200, v124
	;; [unrolled: 1-line block ×4, first 2 shown]
	ds_read2_b64 v[16:19], v16 offset0:42 offset1:246
	ds_read2_b64 v[72:75], v60 offset0:2 offset1:206
	ds_read2_b64 v[68:71], v76 offset0:26 offset1:230
	ds_read2_b64 v[64:67], v61 offset0:50 offset1:254
	ds_read2_b64 v[60:63], v62 offset0:10 offset1:214
.LBB0_19:
	s_or_b32 exec_lo, exec_lo, s1
	s_waitcnt lgkmcnt(4)
	v_mul_f32_e32 v76, v57, v23
	s_waitcnt lgkmcnt(3)
	v_mul_f32_e32 v77, v59, v37
	v_mul_f32_e32 v57, v57, v22
	;; [unrolled: 1-line block ×3, first 2 shown]
	v_fmac_f32_e32 v76, v56, v22
	v_fmac_f32_e32 v77, v58, v36
	v_mul_f32_e32 v22, v53, v39
	v_mul_f32_e32 v36, v53, v38
	s_waitcnt lgkmcnt(2)
	v_mul_f32_e32 v53, v55, v33
	v_mul_f32_e32 v55, v55, v32
	v_fma_f32 v37, v58, v37, -v59
	v_fmac_f32_e32 v22, v52, v38
	v_fma_f32 v36, v52, v39, -v36
	v_mul_f32_e32 v38, v49, v35
	s_waitcnt lgkmcnt(1)
	v_mul_f32_e32 v39, v51, v29
	v_fmac_f32_e32 v53, v54, v32
	v_fma_f32 v32, v54, v33, -v55
	v_mul_f32_e32 v33, v49, v34
	v_fmac_f32_e32 v38, v48, v34
	v_mul_f32_e32 v34, v51, v28
	v_mul_f32_e32 v49, v45, v31
	v_fmac_f32_e32 v39, v50, v28
	s_waitcnt lgkmcnt(0)
	v_mul_f32_e32 v28, v47, v24
	v_fma_f32 v33, v48, v35, -v33
	v_mul_f32_e32 v35, v118, v27
	v_fmac_f32_e32 v49, v44, v30
	v_mul_f32_e32 v30, v45, v30
	v_fma_f32 v28, v46, v25, -v28
	v_mul_f32_e32 v25, v47, v25
	v_add_f32_e32 v45, v20, v77
	v_fma_f32 v29, v50, v29, -v34
	v_add_f32_e32 v34, v53, v39
	v_fmac_f32_e32 v35, v117, v26
	v_fmac_f32_e32 v25, v46, v24
	v_add_f32_e32 v24, v45, v53
	v_sub_f32_e32 v45, v77, v53
	v_mul_f32_e32 v26, v118, v26
	v_fma_f32 v47, -0.5, v34, v20
	v_sub_f32_e32 v46, v25, v39
	v_add_f32_e32 v48, v77, v25
	v_add_f32_e32 v24, v24, v39
	v_sub_f32_e32 v34, v37, v28
	v_fma_f32 v30, v44, v31, -v30
	v_sub_f32_e32 v44, v32, v29
	v_add_f32_e32 v45, v45, v46
	v_fma_f32 v46, -0.5, v48, v20
	v_fma_f32 v20, v117, v27, -v26
	v_add_f32_e32 v48, v24, v25
	v_sub_f32_e32 v24, v53, v77
	v_sub_f32_e32 v26, v39, v25
	v_add_f32_e32 v27, v21, v37
	v_fmamk_f32 v31, v34, 0xbf737871, v47
	v_fmac_f32_e32 v47, 0x3f737871, v34
	v_fmamk_f32 v50, v44, 0x3f737871, v46
	v_add_f32_e32 v51, v32, v29
	v_add_f32_e32 v24, v24, v26
	v_fmac_f32_e32 v46, 0xbf737871, v44
	v_add_f32_e32 v26, v27, v32
	v_fmac_f32_e32 v31, 0xbf167918, v44
	v_fmac_f32_e32 v47, 0x3f167918, v44
	;; [unrolled: 1-line block ×3, first 2 shown]
	v_fma_f32 v44, -0.5, v51, v21
	v_sub_f32_e32 v25, v77, v25
	v_fmac_f32_e32 v46, 0x3f167918, v34
	v_add_f32_e32 v26, v26, v29
	v_add_f32_e32 v27, v37, v28
	v_fmac_f32_e32 v31, 0x3e9e377a, v45
	v_fmac_f32_e32 v47, 0x3e9e377a, v45
	;; [unrolled: 1-line block ×3, first 2 shown]
	v_fmamk_f32 v45, v25, 0x3f737871, v44
	v_sub_f32_e32 v34, v53, v39
	v_sub_f32_e32 v39, v37, v32
	;; [unrolled: 1-line block ×3, first 2 shown]
	v_fmac_f32_e32 v46, 0x3e9e377a, v24
	v_fma_f32 v52, -0.5, v27, v21
	v_add_f32_e32 v53, v26, v28
	v_fmac_f32_e32 v44, 0xbf737871, v25
	v_sub_f32_e32 v24, v32, v37
	v_sub_f32_e32 v26, v29, v28
	v_add_f32_e32 v27, v76, v22
	v_fmac_f32_e32 v45, 0x3f167918, v34
	v_add_f32_e32 v21, v39, v51
	v_fmamk_f32 v39, v34, 0xbf737871, v52
	v_fmac_f32_e32 v44, 0xbf167918, v34
	v_add_f32_e32 v24, v24, v26
	v_fmac_f32_e32 v52, 0x3f737871, v34
	v_add_f32_e32 v26, v27, v38
	v_add_f32_e32 v27, v38, v49
	v_fmac_f32_e32 v45, 0x3e9e377a, v21
	v_fmac_f32_e32 v39, 0x3f167918, v25
	;; [unrolled: 1-line block ×4, first 2 shown]
	v_add_f32_e32 v21, v26, v49
	v_fma_f32 v25, -0.5, v27, v76
	v_add_f32_e32 v26, v22, v35
	v_sub_f32_e32 v27, v36, v20
	v_fmac_f32_e32 v39, 0x3e9e377a, v24
	v_fmac_f32_e32 v52, 0x3e9e377a, v24
	v_add_f32_e32 v32, v21, v35
	v_sub_f32_e32 v21, v33, v30
	v_fmac_f32_e32 v76, -0.5, v26
	v_fmamk_f32 v29, v27, 0xbf737871, v25
	v_sub_f32_e32 v24, v22, v38
	v_sub_f32_e32 v26, v35, v49
	v_fmac_f32_e32 v25, 0x3f737871, v27
	v_fma_f32 v23, v56, v23, -v57
	v_fmac_f32_e32 v29, 0xbf167918, v21
	v_fmamk_f32 v34, v21, 0x3f737871, v76
	v_add_f32_e32 v24, v24, v26
	v_fmac_f32_e32 v25, 0x3f167918, v21
	v_sub_f32_e32 v28, v38, v22
	v_sub_f32_e32 v37, v49, v35
	v_fmac_f32_e32 v76, 0xbf737871, v21
	v_add_f32_e32 v21, v33, v30
	v_fmac_f32_e32 v29, 0x3e9e377a, v24
	v_fmac_f32_e32 v25, 0x3e9e377a, v24
	v_add_f32_e32 v24, v36, v20
	v_fmac_f32_e32 v34, 0xbf167918, v27
	v_add_f32_e32 v26, v28, v37
	v_fmac_f32_e32 v76, 0x3f167918, v27
	v_fma_f32 v21, -0.5, v21, v23
	v_sub_f32_e32 v22, v22, v35
	v_add_f32_e32 v27, v23, v36
	v_sub_f32_e32 v28, v38, v49
	v_fmac_f32_e32 v23, -0.5, v24
	v_fmac_f32_e32 v34, 0x3e9e377a, v26
	v_fmac_f32_e32 v76, 0x3e9e377a, v26
	v_fmamk_f32 v35, v22, 0x3f737871, v21
	v_sub_f32_e32 v24, v36, v33
	v_sub_f32_e32 v26, v20, v30
	v_fmamk_f32 v37, v28, 0xbf737871, v23
	v_sub_f32_e32 v36, v33, v36
	v_sub_f32_e32 v38, v30, v20
	v_fmac_f32_e32 v23, 0x3f737871, v28
	v_fmac_f32_e32 v21, 0xbf737871, v22
	v_fmac_f32_e32 v35, 0x3f167918, v28
	v_add_f32_e32 v24, v24, v26
	v_fmac_f32_e32 v37, 0x3f167918, v22
	v_add_f32_e32 v26, v36, v38
	v_fmac_f32_e32 v23, 0xbf167918, v22
	v_fmac_f32_e32 v21, 0xbf167918, v28
	v_add_f32_e32 v22, v27, v33
	v_fmac_f32_e32 v35, 0x3e9e377a, v24
	v_fmac_f32_e32 v37, 0x3e9e377a, v26
	v_fmac_f32_e32 v23, 0x3e9e377a, v26
	v_fmac_f32_e32 v21, 0x3e9e377a, v24
	v_add_f32_e32 v22, v22, v30
	v_mul_f32_e32 v33, 0xbf167918, v35
	v_mul_f32_e32 v35, 0x3f4f1bbd, v35
	;; [unrolled: 1-line block ×8, first 2 shown]
	v_add_f32_e32 v49, v22, v20
	v_fmac_f32_e32 v33, 0x3f4f1bbd, v29
	v_fmac_f32_e32 v35, 0x3f167918, v29
	;; [unrolled: 1-line block ×8, first 2 shown]
	v_add_f32_e32 v20, v48, v32
	v_add_f32_e32 v22, v31, v33
	v_add_f32_e32 v21, v53, v49
	v_add_f32_e32 v23, v45, v35
	v_add_f32_e32 v24, v50, v36
	v_add_f32_e32 v26, v46, v38
	v_add_f32_e32 v25, v39, v37
	v_add_f32_e32 v27, v52, v54
	v_add_f32_e32 v28, v47, v51
	v_add_f32_e32 v29, v44, v55
	v_sub_f32_e32 v30, v48, v32
	v_sub_f32_e32 v32, v31, v33
	v_sub_f32_e32 v31, v53, v49
	v_sub_f32_e32 v34, v50, v36
	v_sub_f32_e32 v33, v45, v35
	v_sub_f32_e32 v35, v39, v37
	v_sub_f32_e32 v36, v46, v38
	v_sub_f32_e32 v38, v47, v51
	v_sub_f32_e32 v37, v52, v54
	v_sub_f32_e32 v39, v44, v55
	ds_write2_b64 v124, v[20:21], v[22:23] offset1:204
	ds_write2_b64 v43, v[24:25], v[26:27] offset0:24 offset1:228
	ds_write2_b64 v42, v[28:29], v[30:31] offset0:48 offset1:252
	;; [unrolled: 1-line block ×4, first 2 shown]
	s_and_saveexec_b32 s1, s0
	s_cbranch_execz .LBB0_21
; %bb.20:
	v_mul_f32_e32 v20, v3, v68
	v_mul_f32_e32 v21, v15, v64
	;; [unrolled: 1-line block ×5, first 2 shown]
	v_fma_f32 v20, v2, v69, -v20
	v_fma_f32 v21, v14, v65, -v21
	v_fmac_f32_e32 v15, v14, v64
	v_mul_f32_e32 v14, v9, v67
	v_mul_f32_e32 v9, v9, v66
	;; [unrolled: 1-line block ×3, first 2 shown]
	v_add_f32_e32 v7, v20, v21
	v_mul_f32_e32 v1, v1, v74
	v_fmac_f32_e32 v14, v8, v66
	v_fma_f32 v8, v8, v67, -v9
	v_mul_f32_e32 v9, v110, v62
	v_mul_f32_e32 v23, v11, v60
	v_fma_f32 v25, -0.5, v7, v17
	v_mul_f32_e32 v26, v3, v69
	v_mul_f32_e32 v28, v13, v71
	v_fmac_f32_e32 v27, v0, v74
	v_mul_f32_e32 v7, v13, v70
	v_mul_f32_e32 v13, v5, v19
	;; [unrolled: 1-line block ×3, first 2 shown]
	v_fma_f32 v0, v0, v75, -v1
	v_fma_f32 v9, v109, v63, -v9
	;; [unrolled: 1-line block ×4, first 2 shown]
	v_fmac_f32_e32 v26, v2, v68
	v_mul_f32_e32 v2, v110, v63
	v_fmac_f32_e32 v28, v12, v70
	v_fma_f32 v7, v12, v71, -v7
	v_fmac_f32_e32 v13, v4, v18
	v_fma_f32 v4, v4, v19, -v5
	v_add_f32_e32 v39, v0, v9
	v_mul_f32_e32 v11, v11, v61
	v_fmac_f32_e32 v2, v109, v62
	v_add_f32_e32 v5, v7, v8
	v_sub_f32_e32 v32, v28, v14
	v_add_f32_e32 v37, v22, v23
	v_fma_f32 v39, -0.5, v39, v4
	v_fmac_f32_e32 v24, v6, v72
	v_fmac_f32_e32 v11, v10, v60
	v_add_f32_e32 v12, v28, v14
	v_fma_f32 v18, -0.5, v5, v4
	v_sub_f32_e32 v5, v27, v2
	v_sub_f32_e32 v19, v0, v9
	;; [unrolled: 1-line block ×4, first 2 shown]
	v_fma_f32 v37, -0.5, v37, v17
	v_sub_f32_e32 v44, v7, v0
	v_fmamk_f32 v46, v32, 0x3f737871, v39
	v_fmac_f32_e32 v39, 0xbf737871, v32
	v_add_f32_e32 v0, v4, v0
	v_sub_f32_e32 v3, v24, v11
	v_fma_f32 v12, -0.5, v12, v13
	v_sub_f32_e32 v30, v9, v8
	v_fmamk_f32 v31, v5, 0xbf737871, v18
	v_add_f32_e32 v40, v27, v2
	v_fmamk_f32 v48, v36, 0x3f737871, v37
	v_fmac_f32_e32 v46, 0xbf167918, v5
	v_fmac_f32_e32 v37, 0xbf737871, v36
	;; [unrolled: 1-line block ×4, first 2 shown]
	v_add_f32_e32 v5, v22, v17
	v_add_f32_e32 v0, v0, v7
	v_sub_f32_e32 v6, v22, v20
	v_sub_f32_e32 v10, v23, v21
	;; [unrolled: 1-line block ×4, first 2 shown]
	v_fmamk_f32 v34, v19, 0x3f737871, v12
	v_sub_f32_e32 v35, v7, v8
	v_add_f32_e32 v29, v29, v30
	v_fmac_f32_e32 v31, 0xbf167918, v32
	v_fmamk_f32 v30, v3, 0xbf737871, v25
	v_fma_f32 v40, -0.5, v40, v13
	v_fmac_f32_e32 v48, 0xbf167918, v3
	v_fmac_f32_e32 v37, 0x3f167918, v3
	;; [unrolled: 1-line block ×5, first 2 shown]
	v_add_f32_e32 v3, v20, v5
	v_add_f32_e32 v0, v0, v8
	;; [unrolled: 1-line block ×4, first 2 shown]
	v_fmac_f32_e32 v34, 0x3f167918, v35
	v_fmac_f32_e32 v31, 0x3e9e377a, v29
	v_add_f32_e32 v6, v6, v10
	v_fmac_f32_e32 v30, 0xbf167918, v36
	v_sub_f32_e32 v38, v20, v22
	v_sub_f32_e32 v45, v8, v9
	v_fmamk_f32 v47, v35, 0xbf737871, v40
	v_fmac_f32_e32 v40, 0x3f737871, v35
	v_fmac_f32_e32 v12, 0xbf167918, v35
	;; [unrolled: 1-line block ×4, first 2 shown]
	v_add_f32_e32 v3, v21, v3
	v_add_f32_e32 v29, v0, v9
	;; [unrolled: 1-line block ×3, first 2 shown]
	v_sub_f32_e32 v8, v20, v21
	v_fma_f32 v20, -0.5, v4, v16
	v_fmac_f32_e32 v34, 0x3e9e377a, v33
	v_fmac_f32_e32 v30, 0x3e9e377a, v6
	v_sub_f32_e32 v41, v21, v23
	v_sub_f32_e32 v42, v28, v27
	;; [unrolled: 1-line block ×3, first 2 shown]
	v_fmac_f32_e32 v47, 0x3f167918, v19
	v_fmac_f32_e32 v40, 0xbf167918, v19
	;; [unrolled: 1-line block ×4, first 2 shown]
	v_add_f32_e32 v19, v23, v3
	v_fma_f32 v32, -0.5, v0, v16
	v_sub_f32_e32 v0, v22, v23
	v_sub_f32_e32 v6, v24, v26
	v_sub_f32_e32 v4, v11, v15
	v_sub_f32_e32 v22, v26, v24
	v_sub_f32_e32 v23, v15, v11
	v_fmamk_f32 v33, v8, 0xbf737871, v20
	v_fmac_f32_e32 v20, 0x3f737871, v8
	v_add_f32_e32 v42, v42, v43
	v_add_f32_e32 v43, v44, v45
	;; [unrolled: 1-line block ×4, first 2 shown]
	v_fmac_f32_e32 v33, 0x3f167918, v0
	v_fmac_f32_e32 v20, 0xbf167918, v0
	v_add_f32_e32 v16, v24, v16
	v_add_f32_e32 v13, v13, v27
	v_fmac_f32_e32 v39, 0x3e9e377a, v43
	v_fmamk_f32 v21, v0, 0x3f737871, v32
	v_fmac_f32_e32 v33, 0x3e9e377a, v6
	v_fmac_f32_e32 v32, 0xbf737871, v0
	;; [unrolled: 1-line block ×3, first 2 shown]
	v_add_f32_e32 v0, v26, v16
	v_add_f32_e32 v6, v13, v28
	;; [unrolled: 1-line block ×3, first 2 shown]
	v_fmac_f32_e32 v46, 0x3e9e377a, v43
	v_fmac_f32_e32 v40, 0x3e9e377a, v42
	v_mul_f32_e32 v17, 0x3f4f1bbd, v18
	v_mul_f32_e32 v16, 0xbf737871, v39
	v_fmac_f32_e32 v32, 0xbf167918, v8
	v_mul_f32_e32 v18, 0xbf167918, v18
	v_add_f32_e32 v0, v15, v0
	v_add_f32_e32 v6, v6, v14
	v_mul_f32_e32 v10, 0xbf4f1bbd, v31
	v_fmac_f32_e32 v47, 0x3e9e377a, v42
	v_mul_f32_e32 v41, 0xbe9e377a, v46
	v_fmac_f32_e32 v48, 0x3e9e377a, v38
	v_fmac_f32_e32 v37, 0x3e9e377a, v38
	v_mul_f32_e32 v38, 0x3e9e377a, v39
	v_fmac_f32_e32 v21, 0x3f167918, v8
	v_mul_f32_e32 v31, 0xbf167918, v31
	v_mul_f32_e32 v22, 0xbf737871, v46
	v_fmac_f32_e32 v17, 0x3f167918, v12
	v_fmac_f32_e32 v16, 0x3e9e377a, v40
	v_fmac_f32_e32 v32, 0x3e9e377a, v4
	v_fmac_f32_e32 v18, 0x3f4f1bbd, v12
	v_add_f32_e32 v23, v11, v0
	v_add_f32_e32 v24, v6, v2
	v_fmac_f32_e32 v10, 0x3f167918, v34
	v_fmac_f32_e32 v41, 0x3f737871, v47
	;; [unrolled: 1-line block ×6, first 2 shown]
	v_sub_f32_e32 v7, v25, v17
	v_sub_f32_e32 v9, v19, v29
	;; [unrolled: 1-line block ×4, first 2 shown]
	v_add_f32_e32 v17, v25, v17
	v_add_f32_e32 v19, v29, v19
	;; [unrolled: 1-line block ×5, first 2 shown]
	v_add_nc_u32_e32 v20, 0x400, v124
	v_sub_f32_e32 v1, v30, v10
	v_sub_f32_e32 v0, v21, v31
	v_add_f32_e32 v11, v30, v10
	v_add_f32_e32 v13, v48, v41
	;; [unrolled: 1-line block ×5, first 2 shown]
	v_add_nc_u32_e32 v21, 0x1200, v124
	v_sub_f32_e32 v2, v33, v22
	v_sub_f32_e32 v8, v23, v24
	v_add_nc_u32_e32 v22, 0x1e00, v124
	v_sub_f32_e32 v5, v37, v38
	v_add_nc_u32_e32 v23, 0x2a00, v124
	;; [unrolled: 2-line block ×3, first 2 shown]
	ds_write2_b64 v20, v[18:19], v[16:17] offset0:42 offset1:246
	ds_write2_b64 v21, v[14:15], v[12:13] offset0:2 offset1:206
	;; [unrolled: 1-line block ×5, first 2 shown]
.LBB0_21:
	s_or_b32 exec_lo, exec_lo, s1
	s_waitcnt lgkmcnt(0)
	s_barrier
	buffer_gl0_inv
	s_and_b32 exec_lo, exec_lo, vcc_lo
	s_cbranch_execz .LBB0_23
; %bb.22:
	global_load_dwordx2 v[0:1], v122, s[8:9]
	ds_read_b64 v[2:3], v124
	s_mov_b32 s0, 0x10101010
	s_mov_b32 s1, 0x3f401010
	v_mad_u64_u32 v[6:7], null, s4, v123, 0
	s_mul_i32 s2, s5, 0x3c0
	s_mul_i32 s3, s4, 0x3c0
	s_waitcnt vmcnt(0) lgkmcnt(0)
	v_mul_f32_e32 v4, v3, v1
	v_mul_f32_e32 v1, v2, v1
	v_fmac_f32_e32 v4, v2, v0
	v_fma_f32 v2, v0, v3, -v1
	v_cvt_f64_f32_e32 v[0:1], v4
	v_cvt_f64_f32_e32 v[2:3], v2
	v_mad_u64_u32 v[4:5], null, s6, v108, 0
	s_mul_hi_u32 s6, s4, 0x3c0
	s_add_i32 s2, s6, s2
	v_add_co_u32 v12, s6, s8, v122
	v_add_co_ci_u32_e64 v13, null, s9, 0, s6
	v_mad_u64_u32 v[8:9], null, s7, v108, v[5:6]
	v_mad_u64_u32 v[9:10], null, s5, v123, v[7:8]
	v_mov_b32_e32 v5, v8
	v_mul_f64 v[0:1], v[0:1], s[0:1]
	v_mul_f64 v[2:3], v[2:3], s[0:1]
	v_mov_b32_e32 v7, v9
	v_cvt_f32_f64_e32 v0, v[0:1]
	v_cvt_f32_f64_e32 v1, v[2:3]
	v_lshlrev_b64 v[2:3], 3, v[4:5]
	v_lshlrev_b64 v[4:5], 3, v[6:7]
	v_add_co_u32 v10, vcc_lo, s10, v2
	v_add_co_ci_u32_e32 v11, vcc_lo, s11, v3, vcc_lo
	v_add_co_u32 v4, vcc_lo, v10, v4
	v_add_co_ci_u32_e32 v5, vcc_lo, v11, v5, vcc_lo
	global_store_dwordx2 v[4:5], v[0:1], off
	global_load_dwordx2 v[6:7], v122, s[8:9] offset:960
	ds_read2_b64 v[0:3], v122 offset0:120 offset1:240
	v_add_co_u32 v4, vcc_lo, v4, s3
	v_add_co_ci_u32_e32 v5, vcc_lo, s2, v5, vcc_lo
	s_waitcnt vmcnt(0) lgkmcnt(0)
	v_mul_f32_e32 v8, v1, v7
	v_mul_f32_e32 v7, v0, v7
	v_fmac_f32_e32 v8, v0, v6
	v_fma_f32 v6, v6, v1, -v7
	v_cvt_f64_f32_e32 v[0:1], v8
	v_cvt_f64_f32_e32 v[6:7], v6
	v_mul_f64 v[0:1], v[0:1], s[0:1]
	v_mul_f64 v[6:7], v[6:7], s[0:1]
	v_cvt_f32_f64_e32 v0, v[0:1]
	v_cvt_f32_f64_e32 v1, v[6:7]
	global_store_dwordx2 v[4:5], v[0:1], off
	global_load_dwordx2 v[0:1], v122, s[8:9] offset:1920
	v_add_co_u32 v4, vcc_lo, v4, s3
	v_add_co_ci_u32_e32 v5, vcc_lo, s2, v5, vcc_lo
	s_waitcnt vmcnt(0)
	v_mul_f32_e32 v6, v3, v1
	v_mul_f32_e32 v1, v2, v1
	v_fmac_f32_e32 v6, v2, v0
	v_fma_f32 v2, v0, v3, -v1
	v_cvt_f64_f32_e32 v[0:1], v6
	v_cvt_f64_f32_e32 v[2:3], v2
	v_add_co_u32 v6, vcc_lo, 0x800, v12
	v_add_co_ci_u32_e32 v7, vcc_lo, 0, v13, vcc_lo
	v_mul_f64 v[0:1], v[0:1], s[0:1]
	v_mul_f64 v[2:3], v[2:3], s[0:1]
	v_cvt_f32_f64_e32 v0, v[0:1]
	v_cvt_f32_f64_e32 v1, v[2:3]
	global_store_dwordx2 v[4:5], v[0:1], off
	global_load_dwordx2 v[8:9], v[6:7], off offset:832
	v_add_nc_u32_e32 v0, 0x800, v122
	v_add_co_u32 v4, vcc_lo, v4, s3
	v_add_co_ci_u32_e32 v5, vcc_lo, s2, v5, vcc_lo
	ds_read2_b64 v[0:3], v0 offset0:104 offset1:224
	s_waitcnt vmcnt(0) lgkmcnt(0)
	v_mul_f32_e32 v14, v1, v9
	v_mul_f32_e32 v9, v0, v9
	v_fmac_f32_e32 v14, v0, v8
	v_fma_f32 v8, v8, v1, -v9
	v_cvt_f64_f32_e32 v[0:1], v14
	v_cvt_f64_f32_e32 v[8:9], v8
	v_mul_f64 v[0:1], v[0:1], s[0:1]
	v_mul_f64 v[8:9], v[8:9], s[0:1]
	v_cvt_f32_f64_e32 v0, v[0:1]
	v_cvt_f32_f64_e32 v1, v[8:9]
	global_store_dwordx2 v[4:5], v[0:1], off
	global_load_dwordx2 v[0:1], v[6:7], off offset:1792
	v_add_co_u32 v4, vcc_lo, v4, s3
	v_add_co_ci_u32_e32 v5, vcc_lo, s2, v5, vcc_lo
	s_waitcnt vmcnt(0)
	v_mul_f32_e32 v6, v3, v1
	v_mul_f32_e32 v1, v2, v1
	v_fmac_f32_e32 v6, v2, v0
	v_fma_f32 v2, v0, v3, -v1
	v_cvt_f64_f32_e32 v[0:1], v6
	v_cvt_f64_f32_e32 v[2:3], v2
	v_add_co_u32 v6, vcc_lo, 0x1000, v12
	v_add_co_ci_u32_e32 v7, vcc_lo, 0, v13, vcc_lo
	v_mul_f64 v[0:1], v[0:1], s[0:1]
	v_mul_f64 v[2:3], v[2:3], s[0:1]
	v_cvt_f32_f64_e32 v0, v[0:1]
	v_cvt_f32_f64_e32 v1, v[2:3]
	global_store_dwordx2 v[4:5], v[0:1], off
	global_load_dwordx2 v[8:9], v[6:7], off offset:704
	v_add_nc_u32_e32 v0, 0x1000, v122
	v_add_co_u32 v4, vcc_lo, v4, s3
	v_add_co_ci_u32_e32 v5, vcc_lo, s2, v5, vcc_lo
	ds_read2_b64 v[0:3], v0 offset0:88 offset1:208
	s_waitcnt vmcnt(0) lgkmcnt(0)
	v_mul_f32_e32 v14, v1, v9
	v_mul_f32_e32 v9, v0, v9
	v_fmac_f32_e32 v14, v0, v8
	v_fma_f32 v8, v8, v1, -v9
	v_cvt_f64_f32_e32 v[0:1], v14
	v_cvt_f64_f32_e32 v[8:9], v8
	v_mul_f64 v[0:1], v[0:1], s[0:1]
	v_mul_f64 v[8:9], v[8:9], s[0:1]
	v_cvt_f32_f64_e32 v0, v[0:1]
	v_cvt_f32_f64_e32 v1, v[8:9]
	global_store_dwordx2 v[4:5], v[0:1], off
	global_load_dwordx2 v[0:1], v[6:7], off offset:1664
	;; [unrolled: 34-line block ×6, first 2 shown]
	v_add_co_u32 v4, vcc_lo, v4, s3
	v_add_co_ci_u32_e32 v5, vcc_lo, s2, v5, vcc_lo
	s_waitcnt vmcnt(0)
	v_mul_f32_e32 v6, v3, v1
	v_mul_f32_e32 v1, v2, v1
	v_fmac_f32_e32 v6, v2, v0
	v_fma_f32 v2, v0, v3, -v1
	v_cvt_f64_f32_e32 v[0:1], v6
	v_cvt_f64_f32_e32 v[2:3], v2
	v_mul_f64 v[0:1], v[0:1], s[0:1]
	v_mul_f64 v[2:3], v[2:3], s[0:1]
	v_cvt_f32_f64_e32 v0, v[0:1]
	v_cvt_f32_f64_e32 v1, v[2:3]
	v_add_co_u32 v2, vcc_lo, 0x3800, v12
	v_add_co_ci_u32_e32 v3, vcc_lo, 0, v13, vcc_lo
	global_store_dwordx2 v[4:5], v[0:1], off
	global_load_dwordx2 v[6:7], v[2:3], off offset:64
	v_add_nc_u32_e32 v0, 0x3800, v122
	v_add_co_u32 v4, vcc_lo, v4, s3
	v_add_co_ci_u32_e32 v5, vcc_lo, s2, v5, vcc_lo
	ds_read2_b64 v[0:3], v0 offset0:8 offset1:128
	s_waitcnt vmcnt(0) lgkmcnt(0)
	v_mul_f32_e32 v8, v1, v7
	v_mul_f32_e32 v7, v0, v7
	v_fmac_f32_e32 v8, v0, v6
	v_fma_f32 v6, v6, v1, -v7
	v_cvt_f64_f32_e32 v[0:1], v8
	v_cvt_f64_f32_e32 v[6:7], v6
	v_mul_f64 v[0:1], v[0:1], s[0:1]
	v_mul_f64 v[6:7], v[6:7], s[0:1]
	v_cvt_f32_f64_e32 v0, v[0:1]
	v_cvt_f32_f64_e32 v1, v[6:7]
	v_lshlrev_b32_e32 v6, 3, v121
	global_store_dwordx2 v[4:5], v[0:1], off
	global_load_dwordx2 v[0:1], v6, s[8:9]
	s_waitcnt vmcnt(0)
	v_mul_f32_e32 v4, v3, v1
	v_mul_f32_e32 v1, v2, v1
	v_fmac_f32_e32 v4, v2, v0
	v_fma_f32 v2, v0, v3, -v1
	v_cvt_f64_f32_e32 v[0:1], v4
	v_cvt_f64_f32_e32 v[2:3], v2
	v_mad_u64_u32 v[4:5], null, s4, v121, 0
	v_mad_u64_u32 v[5:6], null, s5, v121, v[5:6]
	v_mul_f64 v[0:1], v[0:1], s[0:1]
	v_mul_f64 v[2:3], v[2:3], s[0:1]
	v_cvt_f32_f64_e32 v0, v[0:1]
	v_cvt_f32_f64_e32 v1, v[2:3]
	v_lshlrev_b64 v[2:3], 3, v[4:5]
	v_add_co_u32 v2, vcc_lo, v10, v2
	v_add_co_ci_u32_e32 v3, vcc_lo, v11, v3, vcc_lo
	global_store_dwordx2 v[2:3], v[0:1], off
.LBB0_23:
	s_endpgm
	.section	.rodata,"a",@progbits
	.p2align	6, 0x0
	.amdhsa_kernel bluestein_single_back_len2040_dim1_sp_op_CI_CI
		.amdhsa_group_segment_fixed_size 16320
		.amdhsa_private_segment_fixed_size 0
		.amdhsa_kernarg_size 104
		.amdhsa_user_sgpr_count 6
		.amdhsa_user_sgpr_private_segment_buffer 1
		.amdhsa_user_sgpr_dispatch_ptr 0
		.amdhsa_user_sgpr_queue_ptr 0
		.amdhsa_user_sgpr_kernarg_segment_ptr 1
		.amdhsa_user_sgpr_dispatch_id 0
		.amdhsa_user_sgpr_flat_scratch_init 0
		.amdhsa_user_sgpr_private_segment_size 0
		.amdhsa_wavefront_size32 1
		.amdhsa_uses_dynamic_stack 0
		.amdhsa_system_sgpr_private_segment_wavefront_offset 0
		.amdhsa_system_sgpr_workgroup_id_x 1
		.amdhsa_system_sgpr_workgroup_id_y 0
		.amdhsa_system_sgpr_workgroup_id_z 0
		.amdhsa_system_sgpr_workgroup_info 0
		.amdhsa_system_vgpr_workitem_id 0
		.amdhsa_next_free_vgpr 255
		.amdhsa_next_free_sgpr 16
		.amdhsa_reserve_vcc 1
		.amdhsa_reserve_flat_scratch 0
		.amdhsa_float_round_mode_32 0
		.amdhsa_float_round_mode_16_64 0
		.amdhsa_float_denorm_mode_32 3
		.amdhsa_float_denorm_mode_16_64 3
		.amdhsa_dx10_clamp 1
		.amdhsa_ieee_mode 1
		.amdhsa_fp16_overflow 0
		.amdhsa_workgroup_processor_mode 1
		.amdhsa_memory_ordered 1
		.amdhsa_forward_progress 0
		.amdhsa_shared_vgpr_count 0
		.amdhsa_exception_fp_ieee_invalid_op 0
		.amdhsa_exception_fp_denorm_src 0
		.amdhsa_exception_fp_ieee_div_zero 0
		.amdhsa_exception_fp_ieee_overflow 0
		.amdhsa_exception_fp_ieee_underflow 0
		.amdhsa_exception_fp_ieee_inexact 0
		.amdhsa_exception_int_div_zero 0
	.end_amdhsa_kernel
	.text
.Lfunc_end0:
	.size	bluestein_single_back_len2040_dim1_sp_op_CI_CI, .Lfunc_end0-bluestein_single_back_len2040_dim1_sp_op_CI_CI
                                        ; -- End function
	.section	.AMDGPU.csdata,"",@progbits
; Kernel info:
; codeLenInByte = 23168
; NumSgprs: 18
; NumVgprs: 255
; ScratchSize: 0
; MemoryBound: 0
; FloatMode: 240
; IeeeMode: 1
; LDSByteSize: 16320 bytes/workgroup (compile time only)
; SGPRBlocks: 2
; VGPRBlocks: 31
; NumSGPRsForWavesPerEU: 18
; NumVGPRsForWavesPerEU: 255
; Occupancy: 4
; WaveLimiterHint : 1
; COMPUTE_PGM_RSRC2:SCRATCH_EN: 0
; COMPUTE_PGM_RSRC2:USER_SGPR: 6
; COMPUTE_PGM_RSRC2:TRAP_HANDLER: 0
; COMPUTE_PGM_RSRC2:TGID_X_EN: 1
; COMPUTE_PGM_RSRC2:TGID_Y_EN: 0
; COMPUTE_PGM_RSRC2:TGID_Z_EN: 0
; COMPUTE_PGM_RSRC2:TIDIG_COMP_CNT: 0
	.text
	.p2alignl 6, 3214868480
	.fill 48, 4, 3214868480
	.type	__hip_cuid_635c1c98c6a0e4bc,@object ; @__hip_cuid_635c1c98c6a0e4bc
	.section	.bss,"aw",@nobits
	.globl	__hip_cuid_635c1c98c6a0e4bc
__hip_cuid_635c1c98c6a0e4bc:
	.byte	0                               ; 0x0
	.size	__hip_cuid_635c1c98c6a0e4bc, 1

	.ident	"AMD clang version 19.0.0git (https://github.com/RadeonOpenCompute/llvm-project roc-6.4.0 25133 c7fe45cf4b819c5991fe208aaa96edf142730f1d)"
	.section	".note.GNU-stack","",@progbits
	.addrsig
	.addrsig_sym __hip_cuid_635c1c98c6a0e4bc
	.amdgpu_metadata
---
amdhsa.kernels:
  - .args:
      - .actual_access:  read_only
        .address_space:  global
        .offset:         0
        .size:           8
        .value_kind:     global_buffer
      - .actual_access:  read_only
        .address_space:  global
        .offset:         8
        .size:           8
        .value_kind:     global_buffer
      - .actual_access:  read_only
        .address_space:  global
        .offset:         16
        .size:           8
        .value_kind:     global_buffer
      - .actual_access:  read_only
        .address_space:  global
        .offset:         24
        .size:           8
        .value_kind:     global_buffer
      - .actual_access:  read_only
        .address_space:  global
        .offset:         32
        .size:           8
        .value_kind:     global_buffer
      - .offset:         40
        .size:           8
        .value_kind:     by_value
      - .address_space:  global
        .offset:         48
        .size:           8
        .value_kind:     global_buffer
      - .address_space:  global
        .offset:         56
        .size:           8
        .value_kind:     global_buffer
      - .address_space:  global
        .offset:         64
        .size:           8
        .value_kind:     global_buffer
      - .address_space:  global
        .offset:         72
        .size:           8
        .value_kind:     global_buffer
      - .offset:         80
        .size:           4
        .value_kind:     by_value
      - .address_space:  global
        .offset:         88
        .size:           8
        .value_kind:     global_buffer
      - .address_space:  global
        .offset:         96
        .size:           8
        .value_kind:     global_buffer
    .group_segment_fixed_size: 16320
    .kernarg_segment_align: 8
    .kernarg_segment_size: 104
    .language:       OpenCL C
    .language_version:
      - 2
      - 0
    .max_flat_workgroup_size: 170
    .name:           bluestein_single_back_len2040_dim1_sp_op_CI_CI
    .private_segment_fixed_size: 0
    .sgpr_count:     18
    .sgpr_spill_count: 0
    .symbol:         bluestein_single_back_len2040_dim1_sp_op_CI_CI.kd
    .uniform_work_group_size: 1
    .uses_dynamic_stack: false
    .vgpr_count:     255
    .vgpr_spill_count: 0
    .wavefront_size: 32
    .workgroup_processor_mode: 1
amdhsa.target:   amdgcn-amd-amdhsa--gfx1030
amdhsa.version:
  - 1
  - 2
...

	.end_amdgpu_metadata
